;; amdgpu-corpus repo=ROCm/rocFFT kind=compiled arch=gfx906 opt=O3
	.text
	.amdgcn_target "amdgcn-amd-amdhsa--gfx906"
	.amdhsa_code_object_version 6
	.protected	fft_rtc_back_len2000_factors_5_5_5_16_wgs_125_tpt_125_halfLds_half_op_CI_CI_unitstride_sbrr_R2C_dirReg ; -- Begin function fft_rtc_back_len2000_factors_5_5_5_16_wgs_125_tpt_125_halfLds_half_op_CI_CI_unitstride_sbrr_R2C_dirReg
	.globl	fft_rtc_back_len2000_factors_5_5_5_16_wgs_125_tpt_125_halfLds_half_op_CI_CI_unitstride_sbrr_R2C_dirReg
	.p2align	8
	.type	fft_rtc_back_len2000_factors_5_5_5_16_wgs_125_tpt_125_halfLds_half_op_CI_CI_unitstride_sbrr_R2C_dirReg,@function
fft_rtc_back_len2000_factors_5_5_5_16_wgs_125_tpt_125_halfLds_half_op_CI_CI_unitstride_sbrr_R2C_dirReg: ; @fft_rtc_back_len2000_factors_5_5_5_16_wgs_125_tpt_125_halfLds_half_op_CI_CI_unitstride_sbrr_R2C_dirReg
; %bb.0:
	s_load_dwordx4 s[8:11], s[4:5], 0x58
	s_load_dwordx4 s[12:15], s[4:5], 0x0
	;; [unrolled: 1-line block ×3, first 2 shown]
	v_mul_u32_u24_e32 v1, 0x20d, v0
	v_mov_b32_e32 v3, 0
	v_mov_b32_e32 v11, 0
	s_waitcnt lgkmcnt(0)
	v_cmp_lt_u64_e64 s[0:1], s[14:15], 2
	v_add_u32_sdwa v7, s6, v1 dst_sel:DWORD dst_unused:UNUSED_PAD src0_sel:DWORD src1_sel:WORD_1
	v_mov_b32_e32 v8, v3
	s_and_b64 vcc, exec, s[0:1]
	v_mov_b32_e32 v12, 0
	s_cbranch_vccnz .LBB0_8
; %bb.1:
	s_load_dwordx2 s[0:1], s[4:5], 0x10
	s_add_u32 s2, s18, 8
	s_addc_u32 s3, s19, 0
	s_add_u32 s6, s16, 8
	s_addc_u32 s7, s17, 0
	v_mov_b32_e32 v11, 0
	s_waitcnt lgkmcnt(0)
	s_add_u32 s20, s0, 8
	v_mov_b32_e32 v12, 0
	v_mov_b32_e32 v1, v11
	s_addc_u32 s21, s1, 0
	s_mov_b64 s[22:23], 1
	v_mov_b32_e32 v2, v12
.LBB0_2:                                ; =>This Inner Loop Header: Depth=1
	s_load_dwordx2 s[24:25], s[20:21], 0x0
                                        ; implicit-def: $vgpr5_vgpr6
	s_waitcnt lgkmcnt(0)
	v_or_b32_e32 v4, s25, v8
	v_cmp_ne_u64_e32 vcc, 0, v[3:4]
	s_and_saveexec_b64 s[0:1], vcc
	s_xor_b64 s[26:27], exec, s[0:1]
	s_cbranch_execz .LBB0_4
; %bb.3:                                ;   in Loop: Header=BB0_2 Depth=1
	v_cvt_f32_u32_e32 v4, s24
	v_cvt_f32_u32_e32 v5, s25
	s_sub_u32 s0, 0, s24
	s_subb_u32 s1, 0, s25
	v_mac_f32_e32 v4, 0x4f800000, v5
	v_rcp_f32_e32 v4, v4
	v_mul_f32_e32 v4, 0x5f7ffffc, v4
	v_mul_f32_e32 v5, 0x2f800000, v4
	v_trunc_f32_e32 v5, v5
	v_mac_f32_e32 v4, 0xcf800000, v5
	v_cvt_u32_f32_e32 v5, v5
	v_cvt_u32_f32_e32 v4, v4
	v_mul_lo_u32 v6, s0, v5
	v_mul_hi_u32 v9, s0, v4
	v_mul_lo_u32 v13, s1, v4
	v_mul_lo_u32 v10, s0, v4
	v_add_u32_e32 v6, v9, v6
	v_add_u32_e32 v6, v6, v13
	v_mul_hi_u32 v9, v4, v10
	v_mul_lo_u32 v13, v4, v6
	v_mul_hi_u32 v15, v4, v6
	v_mul_hi_u32 v14, v5, v10
	v_mul_lo_u32 v10, v5, v10
	v_mul_hi_u32 v16, v5, v6
	v_add_co_u32_e32 v9, vcc, v9, v13
	v_addc_co_u32_e32 v13, vcc, 0, v15, vcc
	v_mul_lo_u32 v6, v5, v6
	v_add_co_u32_e32 v9, vcc, v9, v10
	v_addc_co_u32_e32 v9, vcc, v13, v14, vcc
	v_addc_co_u32_e32 v10, vcc, 0, v16, vcc
	v_add_co_u32_e32 v6, vcc, v9, v6
	v_addc_co_u32_e32 v9, vcc, 0, v10, vcc
	v_add_co_u32_e32 v4, vcc, v4, v6
	v_addc_co_u32_e32 v5, vcc, v5, v9, vcc
	v_mul_lo_u32 v6, s0, v5
	v_mul_hi_u32 v9, s0, v4
	v_mul_lo_u32 v10, s1, v4
	v_mul_lo_u32 v13, s0, v4
	v_add_u32_e32 v6, v9, v6
	v_add_u32_e32 v6, v6, v10
	v_mul_lo_u32 v14, v4, v6
	v_mul_hi_u32 v15, v4, v13
	v_mul_hi_u32 v16, v4, v6
	v_mul_hi_u32 v10, v5, v13
	v_mul_lo_u32 v13, v5, v13
	v_mul_hi_u32 v9, v5, v6
	v_add_co_u32_e32 v14, vcc, v15, v14
	v_addc_co_u32_e32 v15, vcc, 0, v16, vcc
	v_mul_lo_u32 v6, v5, v6
	v_add_co_u32_e32 v13, vcc, v14, v13
	v_addc_co_u32_e32 v10, vcc, v15, v10, vcc
	v_addc_co_u32_e32 v9, vcc, 0, v9, vcc
	v_add_co_u32_e32 v6, vcc, v10, v6
	v_addc_co_u32_e32 v9, vcc, 0, v9, vcc
	v_add_co_u32_e32 v6, vcc, v4, v6
	v_addc_co_u32_e32 v9, vcc, v5, v9, vcc
	v_mad_u64_u32 v[4:5], s[0:1], v7, v9, 0
	v_mul_hi_u32 v10, v7, v6
	v_add_co_u32_e32 v13, vcc, v10, v4
	v_addc_co_u32_e32 v14, vcc, 0, v5, vcc
	v_mad_u64_u32 v[4:5], s[0:1], v8, v6, 0
	v_mad_u64_u32 v[9:10], s[0:1], v8, v9, 0
	v_add_co_u32_e32 v4, vcc, v13, v4
	v_addc_co_u32_e32 v4, vcc, v14, v5, vcc
	v_addc_co_u32_e32 v5, vcc, 0, v10, vcc
	v_add_co_u32_e32 v9, vcc, v4, v9
	v_addc_co_u32_e32 v6, vcc, 0, v5, vcc
	v_mul_lo_u32 v10, s25, v9
	v_mul_lo_u32 v13, s24, v6
	v_mad_u64_u32 v[4:5], s[0:1], s24, v9, 0
	v_add3_u32 v5, v5, v13, v10
	v_sub_u32_e32 v10, v8, v5
	v_mov_b32_e32 v13, s25
	v_sub_co_u32_e32 v4, vcc, v7, v4
	v_subb_co_u32_e64 v10, s[0:1], v10, v13, vcc
	v_subrev_co_u32_e64 v13, s[0:1], s24, v4
	v_subbrev_co_u32_e64 v10, s[0:1], 0, v10, s[0:1]
	v_cmp_le_u32_e64 s[0:1], s25, v10
	v_cndmask_b32_e64 v14, 0, -1, s[0:1]
	v_cmp_le_u32_e64 s[0:1], s24, v13
	v_cndmask_b32_e64 v13, 0, -1, s[0:1]
	v_cmp_eq_u32_e64 s[0:1], s25, v10
	v_cndmask_b32_e64 v10, v14, v13, s[0:1]
	v_add_co_u32_e64 v13, s[0:1], 2, v9
	v_addc_co_u32_e64 v14, s[0:1], 0, v6, s[0:1]
	v_add_co_u32_e64 v15, s[0:1], 1, v9
	v_addc_co_u32_e64 v16, s[0:1], 0, v6, s[0:1]
	v_subb_co_u32_e32 v5, vcc, v8, v5, vcc
	v_cmp_ne_u32_e64 s[0:1], 0, v10
	v_cmp_le_u32_e32 vcc, s25, v5
	v_cndmask_b32_e64 v10, v16, v14, s[0:1]
	v_cndmask_b32_e64 v14, 0, -1, vcc
	v_cmp_le_u32_e32 vcc, s24, v4
	v_cndmask_b32_e64 v4, 0, -1, vcc
	v_cmp_eq_u32_e32 vcc, s25, v5
	v_cndmask_b32_e32 v4, v14, v4, vcc
	v_cmp_ne_u32_e32 vcc, 0, v4
	v_cndmask_b32_e64 v4, v15, v13, s[0:1]
	v_cndmask_b32_e32 v6, v6, v10, vcc
	v_cndmask_b32_e32 v5, v9, v4, vcc
.LBB0_4:                                ;   in Loop: Header=BB0_2 Depth=1
	s_andn2_saveexec_b64 s[0:1], s[26:27]
	s_cbranch_execz .LBB0_6
; %bb.5:                                ;   in Loop: Header=BB0_2 Depth=1
	v_cvt_f32_u32_e32 v4, s24
	s_sub_i32 s26, 0, s24
	v_rcp_iflag_f32_e32 v4, v4
	v_mul_f32_e32 v4, 0x4f7ffffe, v4
	v_cvt_u32_f32_e32 v4, v4
	v_mul_lo_u32 v5, s26, v4
	v_mul_hi_u32 v5, v4, v5
	v_add_u32_e32 v4, v4, v5
	v_mul_hi_u32 v4, v7, v4
	v_mul_lo_u32 v5, v4, s24
	v_add_u32_e32 v6, 1, v4
	v_sub_u32_e32 v5, v7, v5
	v_subrev_u32_e32 v9, s24, v5
	v_cmp_le_u32_e32 vcc, s24, v5
	v_cndmask_b32_e32 v5, v5, v9, vcc
	v_cndmask_b32_e32 v4, v4, v6, vcc
	v_add_u32_e32 v6, 1, v4
	v_cmp_le_u32_e32 vcc, s24, v5
	v_cndmask_b32_e32 v5, v4, v6, vcc
	v_mov_b32_e32 v6, v3
.LBB0_6:                                ;   in Loop: Header=BB0_2 Depth=1
	s_or_b64 exec, exec, s[0:1]
	v_mul_lo_u32 v4, v6, s24
	v_mul_lo_u32 v13, v5, s25
	v_mad_u64_u32 v[9:10], s[0:1], v5, s24, 0
	s_load_dwordx2 s[0:1], s[6:7], 0x0
	s_load_dwordx2 s[24:25], s[2:3], 0x0
	v_add3_u32 v4, v10, v13, v4
	v_sub_co_u32_e32 v7, vcc, v7, v9
	v_subb_co_u32_e32 v4, vcc, v8, v4, vcc
	s_waitcnt lgkmcnt(0)
	v_mul_lo_u32 v8, s0, v4
	v_mul_lo_u32 v9, s1, v7
	v_mad_u64_u32 v[11:12], s[0:1], s0, v7, v[11:12]
	s_add_u32 s22, s22, 1
	s_addc_u32 s23, s23, 0
	s_add_u32 s2, s2, 8
	v_mul_lo_u32 v4, s24, v4
	v_mul_lo_u32 v10, s25, v7
	v_mad_u64_u32 v[1:2], s[0:1], s24, v7, v[1:2]
	v_add3_u32 v12, v9, v12, v8
	s_addc_u32 s3, s3, 0
	v_mov_b32_e32 v7, s14
	s_add_u32 s6, s6, 8
	v_mov_b32_e32 v8, s15
	s_addc_u32 s7, s7, 0
	v_cmp_ge_u64_e32 vcc, s[22:23], v[7:8]
	s_add_u32 s20, s20, 8
	v_add3_u32 v2, v10, v2, v4
	s_addc_u32 s21, s21, 0
	s_cbranch_vccnz .LBB0_9
; %bb.7:                                ;   in Loop: Header=BB0_2 Depth=1
	v_mov_b32_e32 v8, v6
	v_mov_b32_e32 v7, v5
	s_branch .LBB0_2
.LBB0_8:
	v_mov_b32_e32 v1, v11
	v_mov_b32_e32 v5, v7
	;; [unrolled: 1-line block ×4, first 2 shown]
.LBB0_9:
	s_load_dwordx2 s[0:1], s[4:5], 0x28
	s_lshl_b64 s[6:7], s[14:15], 3
	s_add_u32 s2, s18, s6
	s_addc_u32 s3, s19, s7
                                        ; implicit-def: $vgpr3
                                        ; implicit-def: $vgpr7
                                        ; implicit-def: $vgpr10
                                        ; implicit-def: $vgpr9
	s_waitcnt lgkmcnt(0)
	v_cmp_gt_u64_e32 vcc, s[0:1], v[5:6]
	v_cmp_le_u64_e64 s[0:1], s[0:1], v[5:6]
	s_and_saveexec_b64 s[4:5], s[0:1]
	s_xor_b64 s[0:1], exec, s[4:5]
; %bb.10:
	s_mov_b32 s4, 0x20c49bb
	v_mul_hi_u32 v3, v0, s4
                                        ; implicit-def: $vgpr11_vgpr12
	v_mul_u32_u24_e32 v3, 0x7d, v3
	v_sub_u32_e32 v3, v0, v3
	v_add_u32_e32 v7, 0x7d, v3
	v_add_u32_e32 v10, 0xfa, v3
	;; [unrolled: 1-line block ×3, first 2 shown]
                                        ; implicit-def: $vgpr0
; %bb.11:
	s_andn2_saveexec_b64 s[4:5], s[0:1]
	s_cbranch_execz .LBB0_13
; %bb.12:
	s_add_u32 s0, s16, s6
	s_addc_u32 s1, s17, s7
	s_load_dwordx2 s[0:1], s[0:1], 0x0
	s_mov_b32 s6, 0x20c49bb
	v_mul_hi_u32 v3, v0, s6
	s_waitcnt lgkmcnt(0)
	v_mul_lo_u32 v4, s1, v5
	v_mul_lo_u32 v9, s0, v6
	v_mad_u64_u32 v[7:8], s[0:1], s0, v5, 0
	v_mul_u32_u24_e32 v3, 0x7d, v3
	v_sub_u32_e32 v3, v0, v3
	v_add3_u32 v8, v8, v9, v4
	v_lshlrev_b64 v[7:8], 2, v[7:8]
	v_mov_b32_e32 v0, s9
	v_add_co_u32_e64 v4, s[0:1], s8, v7
	v_addc_co_u32_e64 v0, s[0:1], v0, v8, s[0:1]
	v_lshlrev_b64 v[7:8], 2, v[11:12]
	v_lshlrev_b32_e32 v11, 2, v3
	v_add_co_u32_e64 v4, s[0:1], v4, v7
	v_addc_co_u32_e64 v0, s[0:1], v0, v8, s[0:1]
	v_add_co_u32_e64 v7, s[0:1], v4, v11
	v_addc_co_u32_e64 v8, s[0:1], 0, v0, s[0:1]
	s_movk_i32 s0, 0x1000
	v_add_co_u32_e64 v9, s[0:1], s0, v7
	global_load_dword v0, v[7:8], off
	global_load_dword v4, v[7:8], off offset:500
	global_load_dword v12, v[7:8], off offset:1000
	;; [unrolled: 1-line block ×7, first 2 shown]
	v_addc_co_u32_e64 v10, s[0:1], 0, v8, s[0:1]
	global_load_dword v18, v[7:8], off offset:4000
	global_load_dword v19, v[9:10], off offset:404
	;; [unrolled: 1-line block ×8, first 2 shown]
	v_add_u32_e32 v8, 0, v11
	v_add_u32_e32 v7, 0x7d, v3
	;; [unrolled: 1-line block ×11, first 2 shown]
	s_waitcnt vmcnt(12)
	ds_write2_b32 v11, v12, v13 offset0:122 offset1:247
	ds_write2_b32 v8, v0, v4 offset1:125
	s_waitcnt vmcnt(10)
	ds_write2_b32 v26, v14, v15 offset0:116 offset1:241
	s_waitcnt vmcnt(8)
	ds_write2_b32 v27, v16, v17 offset0:110 offset1:235
	;; [unrolled: 2-line block ×6, first 2 shown]
.LBB0_13:
	s_or_b64 exec, exec, s[4:5]
	v_lshl_add_u32 v0, v3, 2, 0
	v_add_u32_e32 v4, 0x200, v0
	v_add_u32_e32 v12, 0xa00, v0
	s_load_dwordx2 s[2:3], s[2:3], 0x0
	s_waitcnt lgkmcnt(0)
	s_barrier
	ds_read2_b32 v[15:16], v4 offset0:122 offset1:247
	ds_read2_b32 v[13:14], v12 offset0:10 offset1:135
	v_add_u32_e32 v4, 0x1000, v0
	ds_read2_b32 v[17:18], v4 offset0:26 offset1:151
	v_add_u32_e32 v11, 0x1600, v0
	v_add_u32_e32 v4, 0x1c00, v0
	ds_read2_b32 v[19:20], v11 offset0:42 offset1:167
	ds_read2_b32 v[21:22], v4 offset0:58 offset1:183
	s_waitcnt lgkmcnt(3)
	v_pk_add_f16 v4, v16, v14
	s_waitcnt lgkmcnt(2)
	v_pk_add_f16 v4, v4, v18
	v_pk_add_f16 v8, v15, v13
	v_pk_add_f16 v27, v18, v14 neg_lo:[0,1] neg_hi:[0,1]
	v_pk_add_f16 v29, v14, v18 neg_lo:[0,1] neg_hi:[0,1]
	v_pk_add_f16 v8, v8, v17
	s_waitcnt lgkmcnt(0)
	v_pk_add_f16 v33, v14, v22 neg_lo:[0,1] neg_hi:[0,1]
	v_pk_add_f16 v36, v14, v22
	v_pk_add_f16 v4, v4, v20
	v_add_u32_e32 v14, 0x1200, v0
	v_pk_add_f16 v26, v18, v20 neg_lo:[0,1] neg_hi:[0,1]
	v_pk_add_f16 v28, v18, v20
	v_pk_add_f16 v30, v17, v19
	v_pk_add_f16 v34, v17, v19 neg_lo:[0,1] neg_hi:[0,1]
	v_pk_add_f16 v32, v13, v17 neg_lo:[0,1] neg_hi:[0,1]
	v_pk_add_f16 v35, v17, v13 neg_lo:[0,1] neg_hi:[0,1]
	v_pk_add_f16 v37, v13, v21 neg_lo:[0,1] neg_hi:[0,1]
	v_pk_add_f16 v39, v13, v21
	v_pk_add_f16 v8, v8, v19
	v_pk_add_f16 v38, v20, v22 neg_lo:[0,1] neg_hi:[0,1]
	v_pk_add_f16 v40, v22, v20 neg_lo:[0,1] neg_hi:[0,1]
	;; [unrolled: 1-line block ×4, first 2 shown]
	v_pk_add_f16 v31, v4, v22
	v_add_u32_e32 v13, 0x600, v0
	v_add_u32_e32 v4, 0xc00, v0
	ds_read2_b32 v[17:18], v0 offset1:125
	ds_read2_b32 v[19:20], v13 offset0:16 offset1:141
	ds_read2_b32 v[22:23], v4 offset0:32 offset1:157
	;; [unrolled: 1-line block ×3, first 2 shown]
	v_pk_add_f16 v43, v8, v21
	v_add_u32_e32 v21, 0x1800, v0
	s_waitcnt lgkmcnt(2)
	v_pk_add_f16 v8, v17, v19
	s_waitcnt lgkmcnt(1)
	v_pk_add_f16 v8, v8, v22
	;; [unrolled: 2-line block ×3, first 2 shown]
	v_pk_add_f16 v45, v22, v24 neg_lo:[0,1] neg_hi:[0,1]
	v_pk_add_f16 v46, v19, v22 neg_lo:[0,1] neg_hi:[0,1]
	;; [unrolled: 1-line block ×3, first 2 shown]
	ds_read2_b32 v[21:22], v21 offset0:64 offset1:189
	v_pk_add_f16 v4, v18, v20
	v_pk_add_f16 v4, v4, v23
	;; [unrolled: 1-line block ×4, first 2 shown]
	s_waitcnt lgkmcnt(0)
	v_pk_add_f16 v51, v19, v21 neg_lo:[0,1] neg_hi:[0,1]
	s_movk_i32 s0, 0x3b9c
	v_pk_add_f16 v48, v23, v25
	v_pk_add_f16 v49, v23, v25 neg_lo:[0,1] neg_hi:[0,1]
	v_pk_add_f16 v50, v20, v23 neg_lo:[0,1] neg_hi:[0,1]
	v_pk_add_f16 v23, v23, v20 neg_lo:[0,1] neg_hi:[0,1]
	v_pk_add_f16 v19, v19, v21
	v_pk_add_f16 v52, v20, v22 neg_lo:[0,1] neg_hi:[0,1]
	v_pk_add_f16 v20, v20, v22
	v_pk_add_f16 v53, v21, v24 neg_lo:[0,1] neg_hi:[0,1]
	v_pk_add_f16 v24, v24, v21 neg_lo:[0,1] neg_hi:[0,1]
	;; [unrolled: 1-line block ×4, first 2 shown]
	v_pk_add_f16 v22, v4, v22
	v_pk_add_f16 v4, v8, v21
	v_pk_fma_f16 v21, v44, 0.5, v17 op_sel_hi:[1,0,1] neg_lo:[1,0,0] neg_hi:[1,0,0]
	v_pk_mul_f16 v44, v51, s0 op_sel_hi:[1,0]
	s_movk_i32 s1, 0x38b4
	v_pk_add_f16 v8, v46, v53
	v_pk_add_f16 v46, v21, v44 op_sel:[0,1] op_sel_hi:[1,0] neg_lo:[0,1] neg_hi:[0,1]
	v_pk_add_f16 v21, v21, v44 op_sel:[0,1] op_sel_hi:[1,0]
	v_pk_mul_f16 v44, v45, s1 op_sel_hi:[1,0]
	v_pk_add_f16 v46, v46, v44 op_sel:[0,1] op_sel_hi:[1,0] neg_lo:[0,1] neg_hi:[0,1]
	v_pk_add_f16 v21, v21, v44 op_sel:[0,1] op_sel_hi:[1,0]
	s_mov_b32 s6, 0xffff
	s_movk_i32 s4, 0x34f2
	v_bfi_b32 v44, s6, v46, v21
	v_pk_fma_f16 v44, v8, s4, v44 op_sel_hi:[1,0,1]
	v_lshl_add_u32 v53, v3, 4, v0
	v_pk_fma_f16 v17, v19, 0.5, v17 op_sel_hi:[1,0,1] neg_lo:[1,0,0] neg_hi:[1,0,0]
	v_pk_mul_f16 v19, v45, s0 op_sel_hi:[1,0]
	s_barrier
	ds_write2_b32 v53, v4, v44 offset1:1
	v_pk_add_f16 v4, v47, v24
	v_pk_add_f16 v24, v17, v19 op_sel:[0,1] op_sel_hi:[1,0]
	v_pk_add_f16 v17, v17, v19 op_sel:[0,1] op_sel_hi:[1,0] neg_lo:[0,1] neg_hi:[0,1]
	v_pk_mul_f16 v19, v51, s1 op_sel_hi:[1,0]
	v_pk_add_f16 v24, v24, v19 op_sel:[0,1] op_sel_hi:[1,0] neg_lo:[0,1] neg_hi:[0,1]
	v_pk_add_f16 v17, v17, v19 op_sel:[0,1] op_sel_hi:[1,0]
	v_bfi_b32 v19, s6, v24, v17
	v_bfi_b32 v17, s6, v17, v24
	v_pk_fma_f16 v19, v4, s4, v19 op_sel_hi:[1,0,1]
	v_pk_fma_f16 v4, v4, s4, v17 op_sel_hi:[1,0,1]
	ds_write2_b32 v53, v19, v4 offset0:2 offset1:3
	v_bfi_b32 v4, s6, v21, v46
	v_pk_fma_f16 v4, v8, s4, v4 op_sel_hi:[1,0,1]
	ds_write_b32 v53, v4 offset:16
	v_pk_fma_f16 v4, v48, 0.5, v18 op_sel_hi:[1,0,1] neg_lo:[1,0,0] neg_hi:[1,0,0]
	v_pk_mul_f16 v17, v52, s0 op_sel_hi:[1,0]
	v_pk_add_f16 v19, v4, v17 op_sel:[0,1] op_sel_hi:[1,0] neg_lo:[0,1] neg_hi:[0,1]
	v_pk_add_f16 v4, v4, v17 op_sel:[0,1] op_sel_hi:[1,0]
	v_pk_mul_f16 v17, v49, s1 op_sel_hi:[1,0]
	v_pk_add_f16 v19, v19, v17 op_sel:[0,1] op_sel_hi:[1,0] neg_lo:[0,1] neg_hi:[0,1]
	v_pk_add_f16 v17, v4, v17 op_sel:[0,1] op_sel_hi:[1,0]
	v_pk_add_f16 v8, v50, v54
	v_bfi_b32 v4, s6, v19, v17
	v_pk_fma_f16 v21, v8, s4, v4 op_sel_hi:[1,0,1]
	v_mad_i32_i24 v4, v7, 20, 0
	ds_write2_b32 v4, v22, v21 offset1:1
	v_pk_fma_f16 v18, v20, 0.5, v18 op_sel_hi:[1,0,1] neg_lo:[1,0,0] neg_hi:[1,0,0]
	v_pk_mul_f16 v21, v49, s0 op_sel_hi:[1,0]
	v_pk_add_f16 v22, v18, v21 op_sel:[0,1] op_sel_hi:[1,0]
	v_pk_add_f16 v18, v18, v21 op_sel:[0,1] op_sel_hi:[1,0] neg_lo:[0,1] neg_hi:[0,1]
	v_pk_mul_f16 v21, v52, s1 op_sel_hi:[1,0]
	v_pk_add_f16 v22, v22, v21 op_sel:[0,1] op_sel_hi:[1,0] neg_lo:[0,1] neg_hi:[0,1]
	v_pk_add_f16 v18, v18, v21 op_sel:[0,1] op_sel_hi:[1,0]
	v_pk_add_f16 v20, v23, v25
	v_bfi_b32 v21, s6, v22, v18
	v_bfi_b32 v18, s6, v18, v22
	;; [unrolled: 1-line block ×3, first 2 shown]
	v_pk_fma_f16 v21, v20, s4, v21 op_sel_hi:[1,0,1]
	v_pk_fma_f16 v18, v20, s4, v18 op_sel_hi:[1,0,1]
	;; [unrolled: 1-line block ×3, first 2 shown]
	ds_write2_b32 v4, v21, v18 offset0:2 offset1:3
	ds_write_b32 v4, v8 offset:16
	v_pk_fma_f16 v8, v30, 0.5, v15 op_sel_hi:[1,0,1] neg_lo:[1,0,0] neg_hi:[1,0,0]
	v_pk_mul_f16 v18, v37, s0 op_sel_hi:[1,0]
	v_pk_add_f16 v19, v8, v18 op_sel:[0,1] op_sel_hi:[1,0] neg_lo:[0,1] neg_hi:[0,1]
	v_pk_add_f16 v8, v8, v18 op_sel:[0,1] op_sel_hi:[1,0]
	v_pk_mul_f16 v18, v34, s1 op_sel_hi:[1,0]
	v_pk_add_f16 v19, v19, v18 op_sel:[0,1] op_sel_hi:[1,0] neg_lo:[0,1] neg_hi:[0,1]
	v_pk_add_f16 v18, v8, v18 op_sel:[0,1] op_sel_hi:[1,0]
	v_pk_add_f16 v17, v32, v41
	v_bfi_b32 v8, s6, v19, v18
	v_pk_fma_f16 v21, v36, 0.5, v16 op_sel_hi:[1,0,1] neg_lo:[1,0,0] neg_hi:[1,0,0]
	v_pk_mul_f16 v22, v26, s0 op_sel_hi:[1,0]
	v_pk_fma_f16 v16, v28, 0.5, v16 op_sel_hi:[1,0,1] neg_lo:[1,0,0] neg_hi:[1,0,0]
	v_pk_mul_f16 v24, v33, s0 op_sel_hi:[1,0]
	v_pk_fma_f16 v20, v17, s4, v8 op_sel_hi:[1,0,1]
	v_mad_i32_i24 v8, v10, 20, 0
	v_pk_add_f16 v23, v22, v21 op_sel:[1,0] op_sel_hi:[0,1]
	v_pk_add_f16 v21, v21, v22 op_sel:[0,1] op_sel_hi:[1,0] neg_lo:[0,1] neg_hi:[0,1]
	v_pk_mul_f16 v22, v33, s1 op_sel_hi:[1,0]
	v_pk_add_f16 v25, v16, v24 op_sel:[0,1] op_sel_hi:[1,0]
	v_pk_add_f16 v16, v16, v24 op_sel:[0,1] op_sel_hi:[1,0] neg_lo:[0,1] neg_hi:[0,1]
	v_pk_mul_f16 v24, v26, s1 op_sel_hi:[1,0]
	ds_write2_b32 v8, v43, v20 offset1:1
	v_pk_add_f16 v20, v27, v38
	v_pk_add_f16 v23, v23, v22 op_sel:[0,1] op_sel_hi:[1,0] neg_lo:[0,1] neg_hi:[0,1]
	v_pk_add_f16 v21, v22, v21 op_sel:[1,0] op_sel_hi:[0,1]
	v_pk_add_f16 v16, v16, v24 op_sel:[0,1] op_sel_hi:[1,0] neg_lo:[0,1] neg_hi:[0,1]
	v_pk_add_f16 v24, v25, v24 op_sel:[0,1] op_sel_hi:[1,0]
	v_pk_add_f16 v22, v29, v40
	v_bfi_b32 v25, s6, v16, v24
	v_bfi_b32 v16, s6, v24, v16
	v_pk_fma_f16 v32, v20, s4, v23 op_sel_hi:[1,0,1]
	v_pk_fma_f16 v33, v20, s4, v21 op_sel_hi:[1,0,1]
	v_pk_fma_f16 v15, v39, 0.5, v15 op_sel_hi:[1,0,1] neg_lo:[1,0,0] neg_hi:[1,0,0]
	v_pk_mul_f16 v20, v34, s0 op_sel_hi:[1,0]
	v_pk_fma_f16 v38, v22, s4, v25 op_sel_hi:[1,0,1]
	v_pk_fma_f16 v28, v22, s4, v16 op_sel_hi:[1,0,1]
	v_pk_mul_f16 v21, v37, s1 op_sel_hi:[1,0]
	v_pk_add_f16 v22, v15, v20 op_sel:[0,1] op_sel_hi:[1,0]
	v_pk_add_f16 v15, v15, v20 op_sel:[0,1] op_sel_hi:[1,0] neg_lo:[0,1] neg_hi:[0,1]
	v_pk_add_f16 v20, v22, v21 op_sel:[0,1] op_sel_hi:[1,0] neg_lo:[0,1] neg_hi:[0,1]
	v_pk_add_f16 v15, v15, v21 op_sel:[0,1] op_sel_hi:[1,0]
	v_pk_add_f16 v16, v35, v42
	v_bfi_b32 v21, s6, v20, v15
	v_bfi_b32 v15, s6, v15, v20
	v_pk_fma_f16 v21, v16, s4, v21 op_sel_hi:[1,0,1]
	v_pk_fma_f16 v15, v16, s4, v15 op_sel_hi:[1,0,1]
	ds_write2_b32 v8, v21, v15 offset0:2 offset1:3
	v_bfi_b32 v15, s6, v18, v19
	v_lshrrev_b32_e32 v30, 16, v32
	v_pk_fma_f16 v15, v17, s4, v15 op_sel_hi:[1,0,1]
	v_cmp_gt_u32_e64 s[0:1], 25, v3
	ds_write_b32 v8, v15 offset:16
	s_and_saveexec_b64 s[4:5], s[0:1]
	s_cbranch_execz .LBB0_15
; %bb.14:
	v_bfi_b32 v16, s6, v32, v33
	s_mov_b32 s6, 0x5040100
	v_mad_i32_i24 v15, v9, 20, 0
	v_perm_b32 v17, v30, v33, s6
	ds_write2_b32 v15, v31, v38 offset1:1
	ds_write2_b32 v15, v16, v17 offset0:2 offset1:3
	ds_write_b32 v15, v28 offset:16
.LBB0_15:
	s_or_b64 exec, exec, s[4:5]
	s_waitcnt lgkmcnt(0)
	s_barrier
	ds_read2_b32 v[19:20], v13 offset0:16 offset1:141
	ds_read2_b32 v[17:18], v12 offset0:10 offset1:160
	;; [unrolled: 1-line block ×4, first 2 shown]
	v_add_u32_e32 v13, 0xe00, v0
	v_lshlrev_b32_e32 v34, 4, v7
	ds_read2_b32 v[15:16], v13 offset0:29 offset1:154
	v_add_u32_e32 v13, 0x1a00, v0
	v_lshlrev_b32_e32 v35, 4, v10
	v_sub_u32_e32 v23, v4, v34
	ds_read2_b32 v[13:14], v13 offset0:61 offset1:186
	v_sub_u32_e32 v24, v8, v35
	ds_read_b32 v29, v0
	ds_read_b32 v27, v23
	;; [unrolled: 1-line block ×3, first 2 shown]
	v_lshrrev_b32_e32 v39, 16, v28
	v_lshl_add_u32 v23, v9, 2, 0
	s_and_saveexec_b64 s[4:5], s[0:1]
	s_cbranch_execz .LBB0_17
; %bb.16:
	ds_read_b32 v24, v0 offset:6300
	ds_read_b32 v28, v0 offset:7900
	ds_read_b32 v31, v23
	ds_read_b32 v32, v0 offset:4700
	ds_read_b32 v38, v0 offset:3100
	s_mov_b32 s6, 0xffff
	s_waitcnt lgkmcnt(4)
	v_lshrrev_b32_e32 v30, 16, v24
	s_waitcnt lgkmcnt(3)
	v_lshrrev_b32_e32 v39, 16, v28
	s_waitcnt lgkmcnt(1)
	v_bfi_b32 v33, s6, v24, v32
.LBB0_17:
	s_or_b64 exec, exec, s[4:5]
	s_movk_i32 s4, 0xcd
	v_mul_lo_u16_sdwa v24, v3, s4 dst_sel:DWORD dst_unused:UNUSED_PAD src0_sel:BYTE_0 src1_sel:DWORD
	v_lshrrev_b16_e32 v36, 10, v24
	v_mul_lo_u16_e32 v24, 5, v36
	v_sub_u16_e32 v48, v3, v24
	v_mov_b32_e32 v25, 4
	v_lshlrev_b32_sdwa v24, v25, v48 dst_sel:DWORD dst_unused:UNUSED_PAD src0_sel:DWORD src1_sel:BYTE_0
	global_load_dwordx4 v[40:43], v24, s[12:13]
	v_mul_lo_u16_sdwa v24, v7, s4 dst_sel:DWORD dst_unused:UNUSED_PAD src0_sel:BYTE_0 src1_sel:DWORD
	v_lshrrev_b16_e32 v24, 10, v24
	v_mul_lo_u16_e32 v37, 5, v24
	v_sub_u16_e32 v49, v7, v37
	v_lshlrev_b32_sdwa v25, v25, v49 dst_sel:DWORD dst_unused:UNUSED_PAD src0_sel:DWORD src1_sel:BYTE_0
	global_load_dwordx4 v[44:47], v25, s[12:13]
	s_mov_b32 s4, 0xcccd
	v_mul_u32_u24_sdwa v25, v10, s4 dst_sel:DWORD dst_unused:UNUSED_PAD src0_sel:WORD_0 src1_sel:DWORD
	v_lshrrev_b32_e32 v25, 18, v25
	s_waitcnt lgkmcnt(8)
	v_lshrrev_b32_e32 v51, 16, v19
	s_waitcnt lgkmcnt(7)
	;; [unrolled: 2-line block ×3, first 2 shown]
	v_lshrrev_b32_e32 v54, 16, v12
	v_mul_lo_u16_e32 v37, 5, v25
	v_lshrrev_b32_e32 v53, 16, v21
	v_lshrrev_b32_e32 v55, 16, v20
	v_sub_u16_e32 v37, v10, v37
	v_lshlrev_b32_e32 v57, 4, v37
	s_waitcnt lgkmcnt(3)
	v_lshrrev_b32_e32 v50, 16, v13
	v_lshrrev_b32_e32 v56, 16, v15
	;; [unrolled: 1-line block ×4, first 2 shown]
	s_mov_b32 s5, 0xbb9c
	s_movk_i32 s8, 0x3b9c
	s_movk_i32 s7, 0x38b4
	;; [unrolled: 1-line block ×3, first 2 shown]
	v_lshlrev_b32_e32 v37, 2, v37
	s_waitcnt vmcnt(1)
	v_mul_f16_sdwa v59, v40, v19 dst_sel:DWORD dst_unused:UNUSED_PAD src0_sel:WORD_1 src1_sel:DWORD
	v_mul_f16_sdwa v58, v40, v51 dst_sel:DWORD dst_unused:UNUSED_PAD src0_sel:WORD_1 src1_sel:DWORD
	;; [unrolled: 1-line block ×4, first 2 shown]
	v_fma_f16 v51, v40, v51, -v59
	v_mul_f16_sdwa v59, v43, v54 dst_sel:DWORD dst_unused:UNUSED_PAD src0_sel:WORD_1 src1_sel:DWORD
	v_mul_f16_sdwa v62, v42, v53 dst_sel:DWORD dst_unused:UNUSED_PAD src0_sel:WORD_1 src1_sel:DWORD
	;; [unrolled: 1-line block ×3, first 2 shown]
	v_fma_f16 v52, v41, v52, -v61
	v_mul_f16_sdwa v61, v43, v12 dst_sel:DWORD dst_unused:UNUSED_PAD src0_sel:WORD_1 src1_sel:DWORD
	v_fma_f16 v58, v40, v19, v58
	v_fma_f16 v60, v41, v18, v60
	;; [unrolled: 1-line block ×3, first 2 shown]
	v_lshrrev_b32_e32 v19, 16, v22
	v_mul_u32_u24_sdwa v12, v9, s4 dst_sel:DWORD dst_unused:UNUSED_PAD src0_sel:WORD_0 src1_sel:DWORD
	s_waitcnt vmcnt(0)
	v_mul_f16_sdwa v18, v44, v55 dst_sel:DWORD dst_unused:UNUSED_PAD src0_sel:WORD_1 src1_sel:DWORD
	v_fma_f16 v62, v42, v21, v62
	v_fma_f16 v53, v42, v53, -v63
	v_fma_f16 v54, v43, v54, -v61
	global_load_dwordx4 v[40:43], v57, s[12:13]
	v_lshrrev_b32_e32 v12, 18, v12
	v_fma_f16 v57, v44, v20, v18
	v_mul_f16_sdwa v20, v44, v20 dst_sel:DWORD dst_unused:UNUSED_PAD src0_sel:WORD_1 src1_sel:DWORD
	v_mul_f16_sdwa v18, v46, v19 dst_sel:DWORD dst_unused:UNUSED_PAD src0_sel:WORD_1 src1_sel:DWORD
	;; [unrolled: 1-line block ×3, first 2 shown]
	v_fma_f16 v61, v46, v22, v18
	v_mul_lo_u16_e32 v18, 5, v12
	v_fma_f16 v44, v44, v55, -v20
	v_mul_f16_sdwa v20, v45, v15 dst_sel:DWORD dst_unused:UNUSED_PAD src0_sel:WORD_1 src1_sel:DWORD
	v_fma_f16 v46, v46, v19, -v21
	v_mul_f16_sdwa v19, v13, v47 dst_sel:DWORD dst_unused:UNUSED_PAD src0_sel:DWORD src1_sel:WORD_1
	v_sub_u16_e32 v18, v9, v18
	v_fma_f16 v55, v45, v56, -v20
	v_mul_f16_sdwa v20, v45, v56 dst_sel:DWORD dst_unused:UNUSED_PAD src0_sel:WORD_1 src1_sel:DWORD
	v_fma_f16 v56, v50, v47, -v19
	v_mul_f16_sdwa v19, v50, v47 dst_sel:DWORD dst_unused:UNUSED_PAD src0_sel:DWORD src1_sel:WORD_1
	v_fma_f16 v47, v13, v47, v19
	v_lshlrev_b32_e32 v13, 4, v18
	v_fma_f16 v45, v45, v15, v20
	global_load_dwordx4 v[19:22], v13, s[12:13]
	v_lshrrev_b32_e32 v13, 16, v17
	s_mov_b32 s4, 0xb8b4
	s_waitcnt vmcnt(0) lgkmcnt(0)
	s_barrier
	v_mul_f16_sdwa v15, v13, v40 dst_sel:DWORD dst_unused:UNUSED_PAD src0_sel:DWORD src1_sel:WORD_1
	v_fma_f16 v50, v17, v40, v15
	v_mul_f16_sdwa v15, v17, v40 dst_sel:DWORD dst_unused:UNUSED_PAD src0_sel:DWORD src1_sel:WORD_1
	v_lshrrev_b32_e32 v17, 16, v16
	v_mul_f16_sdwa v65, v64, v42 dst_sel:DWORD dst_unused:UNUSED_PAD src0_sel:DWORD src1_sel:WORD_1
	v_mul_f16_sdwa v67, v66, v43 dst_sel:DWORD dst_unused:UNUSED_PAD src0_sel:DWORD src1_sel:WORD_1
	;; [unrolled: 1-line block ×3, first 2 shown]
	v_fma_f16 v65, v11, v42, v65
	v_mul_f16_sdwa v11, v11, v42 dst_sel:DWORD dst_unused:UNUSED_PAD src0_sel:DWORD src1_sel:WORD_1
	v_fma_f16 v67, v14, v43, v67
	v_mul_f16_sdwa v14, v14, v43 dst_sel:DWORD dst_unused:UNUSED_PAD src0_sel:DWORD src1_sel:WORD_1
	v_fma_f16 v40, v13, v40, -v15
	v_lshrrev_b32_e32 v13, 16, v38
	v_fma_f16 v63, v16, v41, v63
	v_mul_f16_sdwa v16, v16, v41 dst_sel:DWORD dst_unused:UNUSED_PAD src0_sel:DWORD src1_sel:WORD_1
	v_fma_f16 v42, v64, v42, -v11
	v_fma_f16 v43, v66, v43, -v14
	v_mov_b32_e32 v11, 2
	v_fma_f16 v41, v17, v41, -v16
	v_lshlrev_b32_sdwa v17, v11, v48 dst_sel:DWORD dst_unused:UNUSED_PAD src0_sel:DWORD src1_sel:BYTE_0
	v_mul_f16_sdwa v14, v13, v19 dst_sel:DWORD dst_unused:UNUSED_PAD src0_sel:DWORD src1_sel:WORD_1
	v_fma_f16 v48, v38, v19, v14
	v_mul_f16_sdwa v14, v38, v19 dst_sel:DWORD dst_unused:UNUSED_PAD src0_sel:DWORD src1_sel:WORD_1
	v_fma_f16 v38, v13, v19, -v14
	v_lshrrev_b32_e32 v13, 16, v33
	v_mul_f16_sdwa v14, v13, v20 dst_sel:DWORD dst_unused:UNUSED_PAD src0_sel:DWORD src1_sel:WORD_1
	v_lshlrev_b32_sdwa v11, v11, v49 dst_sel:DWORD dst_unused:UNUSED_PAD src0_sel:DWORD src1_sel:BYTE_0
	v_fma_f16 v49, v32, v20, v14
	v_mul_f16_sdwa v14, v32, v20 dst_sel:DWORD dst_unused:UNUSED_PAD src0_sel:DWORD src1_sel:WORD_1
	v_fma_f16 v20, v13, v20, -v14
	v_mul_f16_sdwa v13, v30, v21 dst_sel:DWORD dst_unused:UNUSED_PAD src0_sel:DWORD src1_sel:WORD_1
	v_fma_f16 v32, v33, v21, v13
	v_mul_f16_sdwa v13, v33, v21 dst_sel:DWORD dst_unused:UNUSED_PAD src0_sel:DWORD src1_sel:WORD_1
	v_fma_f16 v21, v30, v21, -v13
	v_mul_f16_sdwa v13, v39, v22 dst_sel:DWORD dst_unused:UNUSED_PAD src0_sel:DWORD src1_sel:WORD_1
	v_fma_f16 v33, v28, v22, v13
	v_mul_f16_sdwa v13, v28, v22 dst_sel:DWORD dst_unused:UNUSED_PAD src0_sel:DWORD src1_sel:WORD_1
	v_fma_f16 v22, v39, v22, -v13
	v_add_f16_e32 v13, v60, v62
	v_fma_f16 v13, v13, -0.5, v29
	v_sub_f16_e32 v14, v51, v54
	v_fma_f16 v15, v14, s5, v13
	v_sub_f16_e32 v16, v52, v53
	v_sub_f16_e32 v19, v58, v60
	;; [unrolled: 1-line block ×3, first 2 shown]
	v_fma_f16 v13, v14, s8, v13
	v_fma_f16 v15, v16, s4, v15
	v_add_f16_e32 v19, v19, v28
	v_fma_f16 v13, v16, s7, v13
	v_fma_f16 v64, v19, s6, v15
	;; [unrolled: 1-line block ×3, first 2 shown]
	v_sub_f16_e32 v15, v60, v58
	v_sub_f16_e32 v19, v62, v59
	v_add_f16_e32 v15, v15, v19
	v_add_f16_e32 v19, v58, v59
	v_fma_f16 v19, v19, -0.5, v29
	v_fma_f16 v28, v16, s8, v19
	v_fma_f16 v16, v16, s5, v19
	;; [unrolled: 1-line block ×4, first 2 shown]
	v_add_f16_e32 v14, v29, v58
	v_add_f16_e32 v14, v14, v60
	;; [unrolled: 1-line block ×3, first 2 shown]
	v_lshrrev_b32_e32 v28, 16, v29
	v_add_f16_e32 v66, v14, v59
	v_fma_f16 v14, v15, s6, v19
	v_fma_f16 v15, v15, s6, v16
	v_add_f16_e32 v16, v52, v53
	v_fma_f16 v16, v16, -0.5, v28
	v_sub_f16_e32 v29, v58, v59
	v_sub_f16_e32 v19, v51, v52
	;; [unrolled: 1-line block ×4, first 2 shown]
	v_add_f16_e32 v19, v19, v39
	v_fma_f16 v39, v29, s8, v16
	v_fma_f16 v16, v29, s5, v16
	;; [unrolled: 1-line block ×6, first 2 shown]
	v_add_f16_e32 v19, v51, v54
	v_fma_f16 v39, v19, -0.5, v28
	v_add_f16_e32 v19, v28, v51
	v_add_f16_e32 v19, v19, v52
	;; [unrolled: 1-line block ×4, first 2 shown]
	v_sub_f16_e32 v19, v52, v51
	v_fma_f16 v28, v30, s5, v39
	v_sub_f16_e32 v51, v53, v54
	v_fma_f16 v28, v29, s7, v28
	v_add_f16_e32 v51, v19, v51
	v_fma_f16 v19, v51, s6, v28
	v_fma_f16 v28, v30, s8, v39
	;; [unrolled: 1-line block ×4, first 2 shown]
	v_add_f16_e32 v28, v45, v61
	v_fma_f16 v28, v28, -0.5, v27
	v_sub_f16_e32 v29, v44, v56
	v_sub_f16_e32 v39, v57, v45
	;; [unrolled: 1-line block ×3, first 2 shown]
	v_fma_f16 v30, v29, s5, v28
	v_add_f16_e32 v39, v39, v52
	v_sub_f16_e32 v52, v55, v46
	v_fma_f16 v28, v29, s8, v28
	v_fma_f16 v30, v52, s4, v30
	;; [unrolled: 1-line block ×5, first 2 shown]
	v_sub_f16_e32 v28, v45, v57
	v_sub_f16_e32 v30, v61, v47
	v_add_f16_e32 v28, v28, v30
	v_add_f16_e32 v30, v57, v47
	v_fma_f16 v30, v30, -0.5, v27
	v_fma_f16 v39, v52, s8, v30
	v_fma_f16 v30, v52, s5, v30
	;; [unrolled: 1-line block ×6, first 2 shown]
	v_lshrrev_b32_e32 v28, 16, v27
	v_add_f16_e32 v27, v27, v57
	v_add_f16_e32 v27, v27, v45
	v_sub_f16_e32 v30, v44, v55
	v_sub_f16_e32 v39, v56, v46
	v_add_f16_e32 v27, v27, v61
	v_add_f16_e32 v30, v30, v39
	;; [unrolled: 1-line block ×4, first 2 shown]
	v_sub_f16_e32 v27, v57, v47
	v_fma_f16 v39, v39, -0.5, v28
	v_sub_f16_e32 v29, v45, v61
	v_fma_f16 v45, v27, s8, v39
	v_fma_f16 v39, v27, s5, v39
	;; [unrolled: 1-line block ×6, first 2 shown]
	v_add_f16_e32 v30, v44, v56
	v_fma_f16 v30, v30, -0.5, v28
	v_add_f16_e32 v28, v28, v44
	v_add_f16_e32 v28, v28, v55
	;; [unrolled: 1-line block ×3, first 2 shown]
	v_sub_f16_e32 v39, v55, v44
	v_add_f16_e32 v44, v28, v56
	v_sub_f16_e32 v28, v46, v56
	v_fma_f16 v46, v29, s5, v30
	v_fma_f16 v29, v29, s8, v30
	;; [unrolled: 1-line block ×3, first 2 shown]
	v_add_f16_e32 v28, v39, v28
	v_fma_f16 v27, v27, s4, v29
	v_fma_f16 v55, v28, s6, v27
	v_add_f16_e32 v27, v63, v65
	v_fma_f16 v46, v28, s6, v46
	v_fma_f16 v27, v27, -0.5, v26
	v_sub_f16_e32 v28, v40, v43
	v_sub_f16_e32 v29, v50, v63
	;; [unrolled: 1-line block ×3, first 2 shown]
	v_add_f16_e32 v29, v29, v30
	v_fma_f16 v30, v28, s5, v27
	v_sub_f16_e32 v39, v41, v42
	v_fma_f16 v27, v28, s8, v27
	v_fma_f16 v30, v39, s4, v30
	;; [unrolled: 1-line block ×5, first 2 shown]
	v_sub_f16_e32 v27, v63, v50
	v_sub_f16_e32 v29, v65, v67
	v_add_f16_e32 v27, v27, v29
	v_add_f16_e32 v29, v50, v67
	v_fma_f16 v29, v29, -0.5, v26
	v_fma_f16 v30, v39, s8, v29
	v_fma_f16 v29, v39, s5, v29
	;; [unrolled: 1-line block ×6, first 2 shown]
	v_add_f16_e32 v27, v26, v50
	v_add_f16_e32 v27, v27, v63
	v_sub_f16_e32 v29, v40, v41
	v_sub_f16_e32 v30, v43, v42
	v_add_f16_e32 v27, v27, v65
	v_add_f16_e32 v29, v29, v30
	v_lshrrev_b32_e32 v26, 16, v26
	v_add_f16_e32 v30, v41, v42
	v_add_f16_e32 v69, v27, v67
	v_sub_f16_e32 v27, v50, v67
	v_fma_f16 v30, v30, -0.5, v26
	v_sub_f16_e32 v28, v63, v65
	v_fma_f16 v39, v27, s8, v30
	v_fma_f16 v30, v27, s5, v30
	;; [unrolled: 1-line block ×6, first 2 shown]
	v_add_f16_e32 v29, v40, v43
	v_fma_f16 v29, v29, -0.5, v26
	v_add_f16_e32 v26, v26, v40
	v_add_f16_e32 v26, v26, v41
	v_add_f16_e32 v26, v26, v42
	v_sub_f16_e32 v30, v41, v40
	v_add_f16_e32 v40, v26, v43
	v_sub_f16_e32 v26, v42, v43
	v_add_f16_e32 v26, v30, v26
	v_fma_f16 v30, v28, s5, v29
	v_fma_f16 v28, v28, s8, v29
	;; [unrolled: 1-line block ×6, first 2 shown]
	v_add_f16_e32 v26, v49, v32
	v_fma_f16 v26, v26, -0.5, v31
	v_sub_f16_e32 v27, v48, v49
	v_sub_f16_e32 v28, v33, v32
	;; [unrolled: 1-line block ×3, first 2 shown]
	v_add_f16_e32 v28, v27, v28
	v_fma_f16 v27, v29, s5, v26
	v_sub_f16_e32 v30, v20, v21
	v_fma_f16 v26, v29, s8, v26
	v_fma_f16 v27, v30, s4, v27
	;; [unrolled: 1-line block ×5, first 2 shown]
	v_sub_f16_e32 v26, v49, v48
	v_sub_f16_e32 v39, v32, v33
	v_add_f16_e32 v26, v26, v39
	v_add_f16_e32 v39, v48, v33
	v_fma_f16 v39, v39, -0.5, v31
	v_fma_f16 v43, v30, s8, v39
	v_fma_f16 v30, v30, s5, v39
	;; [unrolled: 1-line block ×6, first 2 shown]
	v_add_f16_e32 v26, v31, v48
	v_add_f16_e32 v26, v26, v49
	;; [unrolled: 1-line block ×4, first 2 shown]
	v_sub_f16_e32 v43, v48, v33
	v_sub_f16_e32 v39, v49, v32
	;; [unrolled: 1-line block ×4, first 2 shown]
	v_add_f16_e32 v33, v32, v33
	v_lshrrev_b32_e32 v31, 16, v31
	v_add_f16_e32 v32, v20, v21
	v_fma_f16 v48, v32, -0.5, v31
	v_fma_f16 v32, v43, s8, v48
	v_fma_f16 v48, v43, s5, v48
	;; [unrolled: 1-line block ×6, first 2 shown]
	v_add_f16_e32 v48, v38, v22
	v_fma_f16 v48, v48, -0.5, v31
	v_add_f16_e32 v31, v31, v38
	v_add_f16_e32 v31, v31, v20
	v_sub_f16_e32 v20, v20, v38
	v_add_f16_e32 v31, v31, v21
	v_sub_f16_e32 v21, v21, v22
	v_add_f16_e32 v20, v20, v21
	v_fma_f16 v21, v39, s5, v48
	v_add_f16_e32 v31, v31, v22
	v_fma_f16 v22, v39, s8, v48
	v_fma_f16 v21, v43, s7, v21
	v_sub_u32_e32 v39, 0, v34
	v_fma_f16 v34, v20, s6, v21
	v_fma_f16 v21, v43, s4, v22
	v_sub_u32_e32 v38, 0, v35
	v_fma_f16 v35, v20, s6, v21
	v_mul_u32_u24_e32 v20, 0x64, v36
	v_add3_u32 v17, 0, v20, v17
	v_pack_b32_f16 v13, v13, v16
	v_pack_b32_f16 v14, v14, v19
	v_pack_b32_f16 v15, v15, v51
	ds_write_b32 v17, v13 offset:80
	v_mul_u32_u24_e32 v13, 0x64, v24
	v_pack_b32_f16 v20, v66, v59
	v_pack_b32_f16 v21, v64, v58
	ds_write2_b32 v17, v14, v15 offset0:10 offset1:15
	v_add3_u32 v11, 0, v13, v11
	v_pack_b32_f16 v13, v62, v44
	v_pack_b32_f16 v14, v53, v45
	ds_write2_b32 v17, v20, v21 offset1:5
	ds_write2_b32 v11, v13, v14 offset1:5
	v_pack_b32_f16 v13, v52, v46
	v_pack_b32_f16 v14, v60, v55
	ds_write2_b32 v11, v13, v14 offset0:10 offset1:15
	v_pack_b32_f16 v13, v54, v47
	ds_write_b32 v11, v13 offset:80
	v_mul_u32_u24_e32 v11, 0x64, v25
	v_add3_u32 v11, 0, v11, v37
	v_pack_b32_f16 v13, v69, v40
	v_pack_b32_f16 v14, v56, v50
	ds_write2_b32 v11, v13, v14 offset1:5
	v_pack_b32_f16 v13, v61, v41
	v_pack_b32_f16 v14, v68, v42
	ds_write2_b32 v11, v13, v14 offset0:10 offset1:15
	v_pack_b32_f16 v13, v57, v63
	ds_write_b32 v11, v13 offset:80
	s_and_saveexec_b64 s[4:5], s[0:1]
	s_cbranch_execz .LBB0_19
; %bb.18:
	v_mul_lo_u16_e32 v11, 25, v12
	v_lshlrev_b32_e32 v12, 2, v18
	v_lshlrev_b32_e32 v11, 2, v11
	s_mov_b32 s6, 0x5040100
	v_add3_u32 v11, 0, v12, v11
	v_perm_b32 v12, v31, v26, s6
	v_perm_b32 v13, v32, v27, s6
	ds_write2_b32 v11, v12, v13 offset1:5
	v_perm_b32 v12, v34, v29, s6
	v_perm_b32 v13, v35, v30, s6
	ds_write2_b32 v11, v12, v13 offset0:10 offset1:15
	v_perm_b32 v12, v33, v28, s6
	ds_write_b32 v11, v12 offset:80
.LBB0_19:
	s_or_b64 exec, exec, s[4:5]
	v_add_u32_e32 v11, 0x600, v0
	s_waitcnt lgkmcnt(0)
	s_barrier
	ds_read2_b32 v[19:20], v11 offset0:16 offset1:141
	v_add_u32_e32 v11, 0xa00, v0
	ds_read2_b32 v[13:14], v11 offset0:10 offset1:160
	v_add_u32_e32 v11, 0x1200, v0
	v_add_u32_e32 v25, v4, v39
	;; [unrolled: 1-line block ×3, first 2 shown]
	ds_read2_b32 v[21:22], v11 offset0:48 offset1:173
	v_add_u32_e32 v11, 0x1600, v0
	ds_read2_b32 v[17:18], v4 offset0:29 offset1:154
	v_add_u32_e32 v4, 0x1a00, v0
	ds_read2_b32 v[11:12], v11 offset0:42 offset1:192
	ds_read2_b32 v[15:16], v4 offset0:61 offset1:186
	v_add_u32_e32 v24, v8, v38
	ds_read_b32 v36, v0
	ds_read_b32 v8, v25
	;; [unrolled: 1-line block ×3, first 2 shown]
	s_and_saveexec_b64 s[4:5], s[0:1]
	s_cbranch_execz .LBB0_21
; %bb.20:
	ds_read_b32 v26, v23
	ds_read_b32 v27, v0 offset:3100
	ds_read_b32 v29, v0 offset:4700
	;; [unrolled: 1-line block ×4, first 2 shown]
	s_waitcnt lgkmcnt(4)
	v_lshrrev_b32_e32 v31, 16, v26
	s_waitcnt lgkmcnt(3)
	v_lshrrev_b32_e32 v32, 16, v27
	;; [unrolled: 2-line block ×5, first 2 shown]
.LBB0_21:
	s_or_b64 exec, exec, s[4:5]
	v_mov_b32_e32 v56, 41
	v_mul_lo_u16_sdwa v37, v3, v56 dst_sel:DWORD dst_unused:UNUSED_PAD src0_sel:BYTE_0 src1_sel:DWORD
	v_lshrrev_b16_e32 v57, 10, v37
	v_mul_lo_u16_e32 v37, 25, v57
	v_sub_u16_e32 v37, v3, v37
	v_mov_b32_e32 v58, 2
	v_mov_b32_e32 v60, 4
	v_lshlrev_b32_sdwa v59, v58, v37 dst_sel:DWORD dst_unused:UNUSED_PAD src0_sel:DWORD src1_sel:BYTE_0
	v_lshlrev_b32_sdwa v37, v60, v37 dst_sel:DWORD dst_unused:UNUSED_PAD src0_sel:DWORD src1_sel:BYTE_0
	global_load_dwordx4 v[37:40], v37, s[12:13] offset:80
	s_waitcnt lgkmcnt(8)
	v_lshrrev_b32_e32 v48, 16, v19
	s_waitcnt lgkmcnt(7)
	v_lshrrev_b32_e32 v49, 16, v14
	;; [unrolled: 2-line block ×4, first 2 shown]
	v_lshrrev_b32_e32 v52, 16, v20
	v_lshrrev_b32_e32 v53, 16, v17
	;; [unrolled: 1-line block ×3, first 2 shown]
	s_waitcnt lgkmcnt(3)
	v_lshrrev_b32_e32 v55, 16, v15
	s_movk_i32 s15, 0x47af
	v_lshrrev_b32_e32 v44, 16, v13
	v_lshrrev_b32_e32 v45, 16, v18
	;; [unrolled: 1-line block ×4, first 2 shown]
	s_mov_b32 s8, 0xbb9c
	s_movk_i32 s14, 0x3b9c
	s_mov_b32 s7, 0xb8b4
	s_movk_i32 s9, 0x38b4
	s_movk_i32 s6, 0x34f2
	s_waitcnt lgkmcnt(2)
	v_lshrrev_b32_e32 v41, 16, v36
	s_waitcnt lgkmcnt(1)
	v_lshrrev_b32_e32 v42, 16, v8
	;; [unrolled: 2-line block ×3, first 2 shown]
	s_waitcnt vmcnt(0)
	v_mul_f16_sdwa v61, v37, v48 dst_sel:DWORD dst_unused:UNUSED_PAD src0_sel:WORD_1 src1_sel:DWORD
	v_fma_f16 v61, v37, v19, v61
	v_mul_f16_sdwa v19, v37, v19 dst_sel:DWORD dst_unused:UNUSED_PAD src0_sel:WORD_1 src1_sel:DWORD
	v_fma_f16 v48, v37, v48, -v19
	v_mul_f16_sdwa v19, v38, v49 dst_sel:DWORD dst_unused:UNUSED_PAD src0_sel:WORD_1 src1_sel:DWORD
	v_fma_f16 v62, v38, v14, v19
	v_mul_f16_sdwa v14, v38, v14 dst_sel:DWORD dst_unused:UNUSED_PAD src0_sel:WORD_1 src1_sel:DWORD
	v_mul_f16_sdwa v19, v39, v50 dst_sel:DWORD dst_unused:UNUSED_PAD src0_sel:WORD_1 src1_sel:DWORD
	v_fma_f16 v14, v38, v49, -v14
	v_fma_f16 v49, v39, v21, v19
	v_mul_f16_sdwa v19, v39, v21 dst_sel:DWORD dst_unused:UNUSED_PAD src0_sel:WORD_1 src1_sel:DWORD
	v_fma_f16 v50, v39, v50, -v19
	v_mul_f16_sdwa v19, v40, v51 dst_sel:DWORD dst_unused:UNUSED_PAD src0_sel:WORD_1 src1_sel:DWORD
	v_fma_f16 v63, v40, v12, v19
	v_mul_f16_sdwa v12, v40, v12 dst_sel:DWORD dst_unused:UNUSED_PAD src0_sel:WORD_1 src1_sel:DWORD
	v_mul_lo_u16_sdwa v19, v7, v56 dst_sel:DWORD dst_unused:UNUSED_PAD src0_sel:BYTE_0 src1_sel:DWORD
	v_fma_f16 v12, v40, v51, -v12
	v_lshrrev_b16_e32 v51, 10, v19
	v_mul_lo_u16_e32 v19, 25, v51
	v_sub_u16_e32 v19, v7, v19
	v_lshlrev_b32_sdwa v56, v58, v19 dst_sel:DWORD dst_unused:UNUSED_PAD src0_sel:DWORD src1_sel:BYTE_0
	v_lshlrev_b32_sdwa v19, v60, v19 dst_sel:DWORD dst_unused:UNUSED_PAD src0_sel:DWORD src1_sel:BYTE_0
	global_load_dwordx4 v[37:40], v19, s[12:13] offset:80
	v_sub_f16_e32 v60, v61, v62
	v_sub_f16_e32 v64, v63, v49
	v_add_f16_e32 v60, v60, v64
	v_sub_f16_e32 v64, v62, v61
	v_sub_f16_e32 v65, v49, v63
	v_add_f16_e32 v64, v64, v65
	s_waitcnt vmcnt(0)
	v_mul_f16_sdwa v19, v37, v52 dst_sel:DWORD dst_unused:UNUSED_PAD src0_sel:WORD_1 src1_sel:DWORD
	v_fma_f16 v58, v37, v20, v19
	v_mul_f16_sdwa v19, v37, v20 dst_sel:DWORD dst_unused:UNUSED_PAD src0_sel:WORD_1 src1_sel:DWORD
	v_fma_f16 v37, v37, v52, -v19
	v_mul_f16_sdwa v19, v38, v53 dst_sel:DWORD dst_unused:UNUSED_PAD src0_sel:WORD_1 src1_sel:DWORD
	v_fma_f16 v52, v38, v17, v19
	v_mul_f16_sdwa v17, v38, v17 dst_sel:DWORD dst_unused:UNUSED_PAD src0_sel:WORD_1 src1_sel:DWORD
	v_mul_f16_sdwa v19, v39, v54 dst_sel:DWORD dst_unused:UNUSED_PAD src0_sel:WORD_1 src1_sel:DWORD
	v_fma_f16 v17, v38, v53, -v17
	v_fma_f16 v38, v39, v22, v19
	v_mul_f16_sdwa v19, v39, v22 dst_sel:DWORD dst_unused:UNUSED_PAD src0_sel:WORD_1 src1_sel:DWORD
	v_fma_f16 v39, v39, v54, -v19
	v_mul_f16_sdwa v19, v40, v55 dst_sel:DWORD dst_unused:UNUSED_PAD src0_sel:WORD_1 src1_sel:DWORD
	v_fma_f16 v53, v40, v15, v19
	v_mul_u32_u24_sdwa v19, v10, s15 dst_sel:DWORD dst_unused:UNUSED_PAD src0_sel:WORD_0 src1_sel:DWORD
	v_sub_u16_sdwa v20, v10, v19 dst_sel:DWORD dst_unused:UNUSED_PAD src0_sel:DWORD src1_sel:WORD_1
	v_lshrrev_b16_e32 v20, 1, v20
	v_mul_f16_sdwa v15, v40, v15 dst_sel:DWORD dst_unused:UNUSED_PAD src0_sel:WORD_1 src1_sel:DWORD
	v_add_u16_sdwa v19, v20, v19 dst_sel:DWORD dst_unused:UNUSED_PAD src0_sel:DWORD src1_sel:WORD_1
	v_fma_f16 v15, v40, v55, -v15
	v_lshrrev_b16_e32 v40, 4, v19
	v_mul_lo_u16_e32 v19, 25, v40
	v_sub_u16_e32 v19, v10, v19
	v_lshlrev_b32_e32 v54, 2, v19
	v_lshlrev_b32_e32 v19, 4, v19
	global_load_dwordx4 v[19:22], v19, s[12:13] offset:80
	v_sub_f16_e32 v65, v38, v53
	s_waitcnt vmcnt(0)
	s_barrier
	v_mul_f16_sdwa v55, v44, v19 dst_sel:DWORD dst_unused:UNUSED_PAD src0_sel:DWORD src1_sel:WORD_1
	v_fma_f16 v55, v13, v19, v55
	v_mul_f16_sdwa v13, v13, v19 dst_sel:DWORD dst_unused:UNUSED_PAD src0_sel:DWORD src1_sel:WORD_1
	v_fma_f16 v13, v44, v19, -v13
	v_mul_f16_sdwa v19, v45, v20 dst_sel:DWORD dst_unused:UNUSED_PAD src0_sel:DWORD src1_sel:WORD_1
	v_fma_f16 v19, v18, v20, v19
	v_mul_f16_sdwa v18, v18, v20 dst_sel:DWORD dst_unused:UNUSED_PAD src0_sel:DWORD src1_sel:WORD_1
	v_fma_f16 v18, v45, v20, -v18
	;; [unrolled: 4-line block ×3, first 2 shown]
	v_mul_f16_sdwa v21, v47, v22 dst_sel:DWORD dst_unused:UNUSED_PAD src0_sel:DWORD src1_sel:WORD_1
	v_add_f16_e32 v44, v62, v49
	v_fma_f16 v21, v16, v22, v21
	v_mul_f16_sdwa v16, v16, v22 dst_sel:DWORD dst_unused:UNUSED_PAD src0_sel:DWORD src1_sel:WORD_1
	v_fma_f16 v44, v44, -0.5, v36
	v_sub_f16_e32 v45, v48, v12
	v_fma_f16 v16, v47, v22, -v16
	v_fma_f16 v46, v45, s8, v44
	v_sub_f16_e32 v47, v14, v50
	v_fma_f16 v44, v45, s14, v44
	v_fma_f16 v46, v47, s7, v46
	;; [unrolled: 1-line block ×5, first 2 shown]
	v_add_f16_e32 v60, v61, v63
	v_add_f16_e32 v22, v36, v61
	v_fma_f16 v36, v60, -0.5, v36
	v_add_f16_e32 v22, v22, v62
	v_fma_f16 v60, v47, s14, v36
	v_fma_f16 v36, v47, s8, v36
	v_add_f16_e32 v47, v14, v50
	v_add_f16_e32 v22, v22, v49
	v_fma_f16 v47, v47, -0.5, v41
	v_sub_f16_e32 v61, v61, v63
	v_add_f16_e32 v22, v22, v63
	v_fma_f16 v60, v45, s7, v60
	v_fma_f16 v36, v45, s9, v36
	;; [unrolled: 1-line block ×3, first 2 shown]
	v_sub_f16_e32 v49, v62, v49
	v_fma_f16 v60, v64, s6, v60
	v_fma_f16 v36, v64, s6, v36
	;; [unrolled: 1-line block ×3, first 2 shown]
	v_sub_f16_e32 v63, v48, v14
	v_sub_f16_e32 v64, v12, v50
	v_fma_f16 v47, v61, s8, v47
	v_add_f16_e32 v45, v41, v48
	v_add_f16_e32 v63, v63, v64
	v_fma_f16 v47, v49, s7, v47
	v_add_f16_e32 v45, v45, v14
	v_fma_f16 v62, v63, s6, v62
	v_fma_f16 v47, v63, s6, v47
	v_add_f16_e32 v63, v48, v12
	v_add_f16_e32 v45, v45, v50
	v_fma_f16 v41, v63, -0.5, v41
	v_add_f16_e32 v45, v45, v12
	v_fma_f16 v63, v49, s8, v41
	v_sub_f16_e32 v14, v14, v48
	v_sub_f16_e32 v12, v50, v12
	v_add_f16_e32 v48, v52, v38
	v_fma_f16 v63, v61, s9, v63
	v_add_f16_e32 v12, v14, v12
	v_fma_f16 v41, v49, s14, v41
	v_fma_f16 v48, v48, -0.5, v8
	v_sub_f16_e32 v49, v37, v15
	v_fma_f16 v14, v12, s6, v63
	v_fma_f16 v41, v61, s7, v41
	;; [unrolled: 1-line block ×3, first 2 shown]
	v_sub_f16_e32 v61, v17, v39
	v_sub_f16_e32 v63, v58, v52
	;; [unrolled: 1-line block ×3, first 2 shown]
	v_fma_f16 v48, v49, s14, v48
	v_fma_f16 v50, v61, s7, v50
	v_add_f16_e32 v63, v63, v64
	v_fma_f16 v48, v61, s9, v48
	v_fma_f16 v12, v12, s6, v41
	v_add_f16_e32 v41, v8, v58
	;; [unrolled: 3-line block ×3, first 2 shown]
	v_add_f16_e32 v41, v41, v52
	v_fma_f16 v8, v63, -0.5, v8
	v_add_f16_e32 v41, v41, v38
	v_fma_f16 v63, v61, s14, v8
	v_fma_f16 v8, v61, s8, v8
	v_add_f16_e32 v61, v17, v39
	v_add_f16_e32 v41, v41, v53
	v_sub_f16_e32 v64, v52, v58
	v_fma_f16 v61, v61, -0.5, v42
	v_sub_f16_e32 v53, v58, v53
	v_fma_f16 v63, v49, s7, v63
	v_add_f16_e32 v64, v64, v65
	v_fma_f16 v8, v49, s9, v8
	v_fma_f16 v58, v53, s14, v61
	v_sub_f16_e32 v38, v52, v38
	v_fma_f16 v63, v64, s6, v63
	v_fma_f16 v8, v64, s6, v8
	;; [unrolled: 1-line block ×3, first 2 shown]
	v_sub_f16_e32 v58, v37, v17
	v_sub_f16_e32 v64, v15, v39
	v_fma_f16 v61, v53, s8, v61
	v_add_f16_e32 v49, v42, v37
	v_add_f16_e32 v58, v58, v64
	v_fma_f16 v61, v38, s7, v61
	v_add_f16_e32 v49, v49, v17
	v_fma_f16 v52, v58, s6, v52
	v_fma_f16 v58, v58, s6, v61
	v_add_f16_e32 v61, v37, v15
	v_add_f16_e32 v49, v49, v39
	v_fma_f16 v42, v61, -0.5, v42
	v_add_f16_e32 v49, v49, v15
	v_fma_f16 v61, v38, s8, v42
	v_sub_f16_e32 v17, v17, v37
	v_sub_f16_e32 v15, v39, v15
	v_fma_f16 v37, v38, s14, v42
	v_add_f16_e32 v38, v19, v20
	v_fma_f16 v61, v53, s9, v61
	v_add_f16_e32 v15, v17, v15
	v_fma_f16 v38, v38, -0.5, v4
	v_sub_f16_e32 v39, v13, v16
	v_fma_f16 v17, v15, s6, v61
	v_fma_f16 v37, v53, s7, v37
	;; [unrolled: 1-line block ×3, first 2 shown]
	v_sub_f16_e32 v53, v18, v11
	v_sub_f16_e32 v61, v55, v19
	;; [unrolled: 1-line block ×3, first 2 shown]
	v_fma_f16 v38, v39, s14, v38
	v_fma_f16 v42, v53, s7, v42
	v_add_f16_e32 v61, v61, v64
	v_fma_f16 v38, v53, s9, v38
	v_fma_f16 v15, v15, s6, v37
	v_add_f16_e32 v37, v4, v55
	;; [unrolled: 3-line block ×3, first 2 shown]
	v_add_f16_e32 v37, v37, v19
	v_fma_f16 v4, v61, -0.5, v4
	v_add_f16_e32 v37, v37, v20
	v_fma_f16 v61, v53, s14, v4
	v_fma_f16 v4, v53, s8, v4
	v_add_f16_e32 v53, v18, v11
	v_add_f16_e32 v37, v37, v21
	v_sub_f16_e32 v64, v19, v55
	v_sub_f16_e32 v65, v20, v21
	v_fma_f16 v53, v53, -0.5, v43
	v_sub_f16_e32 v21, v55, v21
	v_fma_f16 v61, v39, s7, v61
	v_add_f16_e32 v64, v64, v65
	v_fma_f16 v4, v39, s9, v4
	v_fma_f16 v55, v21, s14, v53
	v_sub_f16_e32 v19, v19, v20
	v_fma_f16 v61, v64, s6, v61
	v_fma_f16 v4, v64, s6, v4
	;; [unrolled: 1-line block ×3, first 2 shown]
	v_sub_f16_e32 v55, v13, v18
	v_sub_f16_e32 v64, v16, v11
	v_fma_f16 v53, v21, s8, v53
	v_add_f16_e32 v39, v43, v13
	v_add_f16_e32 v55, v55, v64
	v_fma_f16 v53, v19, s7, v53
	v_add_f16_e32 v39, v39, v18
	v_fma_f16 v20, v55, s6, v20
	v_fma_f16 v53, v55, s6, v53
	v_add_f16_e32 v55, v13, v16
	v_add_f16_e32 v39, v39, v11
	v_fma_f16 v43, v55, -0.5, v43
	v_add_f16_e32 v39, v39, v16
	v_fma_f16 v55, v19, s8, v43
	v_sub_f16_e32 v13, v18, v13
	v_sub_f16_e32 v11, v11, v16
	v_fma_f16 v16, v19, s14, v43
	v_fma_f16 v55, v21, s9, v55
	v_add_f16_e32 v11, v13, v11
	v_fma_f16 v16, v21, s7, v16
	v_fma_f16 v13, v11, s6, v55
	;; [unrolled: 1-line block ×3, first 2 shown]
	v_mul_u32_u24_e32 v16, 0x1f4, v57
	v_add3_u32 v16, 0, v16, v59
	v_pack_b32_f16 v14, v60, v14
	v_pack_b32_f16 v12, v36, v12
	ds_write2_b32 v16, v14, v12 offset0:50 offset1:75
	v_pack_b32_f16 v12, v44, v47
	v_pack_b32_f16 v18, v22, v45
	;; [unrolled: 1-line block ×3, first 2 shown]
	ds_write_b32 v16, v12 offset:400
	v_mul_u32_u24_e32 v12, 0x1f4, v51
	ds_write2_b32 v16, v18, v19 offset1:25
	v_add3_u32 v12, 0, v12, v56
	v_pack_b32_f16 v14, v41, v49
	v_pack_b32_f16 v16, v50, v52
	ds_write2_b32 v12, v14, v16 offset1:25
	v_pack_b32_f16 v14, v63, v17
	v_pack_b32_f16 v8, v8, v15
	ds_write2_b32 v12, v14, v8 offset0:50 offset1:75
	v_pack_b32_f16 v8, v48, v58
	ds_write_b32 v12, v8 offset:400
	v_mul_u32_u24_e32 v8, 0x1f4, v40
	v_add3_u32 v8, 0, v8, v54
	v_pack_b32_f16 v12, v37, v39
	v_pack_b32_f16 v14, v42, v20
	ds_write2_b32 v8, v12, v14 offset1:25
	v_pack_b32_f16 v12, v61, v13
	v_pack_b32_f16 v4, v4, v11
	ds_write2_b32 v8, v12, v4 offset0:50 offset1:75
	v_pack_b32_f16 v4, v38, v53
	ds_write_b32 v8, v4 offset:400
	s_and_saveexec_b64 s[4:5], s[0:1]
	s_cbranch_execz .LBB0_23
; %bb.22:
	v_mul_u32_u24_sdwa v4, v9, s15 dst_sel:DWORD dst_unused:UNUSED_PAD src0_sel:WORD_0 src1_sel:DWORD
	v_sub_u16_sdwa v8, v9, v4 dst_sel:DWORD dst_unused:UNUSED_PAD src0_sel:DWORD src1_sel:WORD_1
	v_lshrrev_b16_e32 v8, 1, v8
	v_add_u16_sdwa v4, v8, v4 dst_sel:DWORD dst_unused:UNUSED_PAD src0_sel:DWORD src1_sel:WORD_1
	v_lshrrev_b16_e32 v4, 4, v4
	v_mul_lo_u16_e32 v4, 25, v4
	v_sub_u16_e32 v4, v9, v4
	v_lshlrev_b32_e32 v8, 4, v4
	global_load_dwordx4 v[11:14], v8, s[12:13] offset:80
	v_lshl_add_u32 v4, v4, 2, 0
	v_add_u32_e32 v8, 0x1c00, v4
	s_waitcnt vmcnt(0)
	v_mul_f16_sdwa v15, v28, v14 dst_sel:DWORD dst_unused:UNUSED_PAD src0_sel:DWORD src1_sel:WORD_1
	v_mul_f16_sdwa v16, v30, v13 dst_sel:DWORD dst_unused:UNUSED_PAD src0_sel:DWORD src1_sel:WORD_1
	;; [unrolled: 1-line block ×8, first 2 shown]
	v_fma_f16 v15, v33, v14, -v15
	v_fma_f16 v16, v35, v13, -v16
	;; [unrolled: 1-line block ×4, first 2 shown]
	v_fma_f16 v11, v27, v11, v19
	v_fma_f16 v12, v29, v12, v20
	;; [unrolled: 1-line block ×4, first 2 shown]
	v_add_f16_e32 v19, v31, v18
	v_add_f16_e32 v20, v26, v11
	v_sub_f16_e32 v21, v17, v18
	v_sub_f16_e32 v22, v16, v15
	v_add_f16_e32 v28, v18, v15
	v_sub_f16_e32 v30, v18, v17
	v_sub_f16_e32 v32, v15, v16
	v_add_f16_e32 v33, v17, v16
	v_add_f16_e32 v36, v11, v14
	v_add_f16_e32 v39, v12, v13
	v_sub_f16_e32 v27, v12, v13
	v_sub_f16_e32 v29, v11, v14
	;; [unrolled: 1-line block ×6, first 2 shown]
	v_add_f16_e32 v17, v19, v17
	v_add_f16_e32 v12, v20, v12
	;; [unrolled: 1-line block ×3, first 2 shown]
	v_fma_f16 v20, v28, -0.5, v31
	v_add_f16_e32 v21, v30, v32
	v_fma_f16 v22, v33, -0.5, v31
	v_fma_f16 v30, v36, -0.5, v26
	;; [unrolled: 1-line block ×3, first 2 shown]
	v_sub_f16_e32 v35, v13, v14
	v_sub_f16_e32 v38, v14, v13
	v_add_f16_e32 v16, v17, v16
	v_add_f16_e32 v12, v12, v13
	v_fma_f16 v13, v27, s14, v20
	v_fma_f16 v17, v27, s8, v20
	;; [unrolled: 1-line block ×7, first 2 shown]
	v_add_f16_e32 v28, v34, v35
	v_add_f16_e32 v11, v11, v38
	v_fma_f16 v30, v37, s14, v30
	v_add_f16_e32 v15, v16, v15
	v_add_f16_e32 v12, v12, v14
	v_fma_f16 v13, v29, s7, v13
	v_fma_f16 v14, v29, s9, v17
	;; [unrolled: 1-line block ×16, first 2 shown]
	v_pack_b32_f16 v12, v12, v15
	v_pack_b32_f16 v11, v11, v17
	;; [unrolled: 1-line block ×5, first 2 shown]
	ds_write2_b32 v8, v12, v11 offset0:83 offset1:108
	ds_write2_b32 v8, v14, v13 offset0:133 offset1:158
	ds_write_b32 v4, v15 offset:7900
.LBB0_23:
	s_or_b64 exec, exec, s[4:5]
	v_mul_u32_u24_e32 v11, 15, v3
	v_lshlrev_b32_e32 v49, 2, v11
	s_waitcnt lgkmcnt(0)
	s_barrier
	ds_read_b32 v4, v0
	ds_read_b32 v8, v25
	;; [unrolled: 1-line block ×4, first 2 shown]
	global_load_dwordx4 v[11:14], v49, s[12:13] offset:480
	v_add_u32_e32 v32, 0x600, v0
	s_waitcnt lgkmcnt(2)
	v_lshrrev_b32_e32 v50, 16, v8
	ds_read2_b32 v[15:16], v32 offset0:116 offset1:241
	v_add_u32_e32 v34, 0xa00, v0
	ds_read2_b32 v[17:18], v34 offset0:110 offset1:235
	v_add_u32_e32 v37, 0xe00, v0
	ds_read2_b32 v[19:20], v37 offset0:104 offset1:229
	s_waitcnt lgkmcnt(2)
	v_lshrrev_b32_e32 v33, 16, v16
	v_add_u32_e32 v40, 0x1200, v0
	s_waitcnt lgkmcnt(1)
	v_lshrrev_b32_e32 v35, 16, v17
	v_lshrrev_b32_e32 v36, 16, v18
	s_waitcnt lgkmcnt(0)
	v_lshrrev_b32_e32 v38, 16, v19
	ds_read2_b32 v[21:22], v40 offset0:98 offset1:223
	v_lshrrev_b32_e32 v39, 16, v20
	v_add_u32_e32 v43, 0x1600, v0
	ds_read2_b32 v[26:27], v43 offset0:92 offset1:217
	v_add_u32_e32 v46, 0x1a00, v0
	s_waitcnt lgkmcnt(1)
	v_lshrrev_b32_e32 v41, 16, v21
	v_lshrrev_b32_e32 v42, 16, v22
	ds_read2_b32 v[28:29], v46 offset0:86 offset1:211
	s_waitcnt lgkmcnt(1)
	v_lshrrev_b32_e32 v44, 16, v26
	v_lshrrev_b32_e32 v45, 16, v27
	s_mov_b32 s0, 0xb9a8
	s_movk_i32 s1, 0x39a8
	s_waitcnt lgkmcnt(0)
	v_lshrrev_b32_e32 v47, 16, v28
	v_lshrrev_b32_e32 v48, 16, v29
	s_mov_b32 s4, 0xbb64
	s_movk_i32 s5, 0x361f
	s_mov_b32 s6, 0xb61f
	s_movk_i32 s7, 0x3b64
	s_waitcnt vmcnt(0)
	v_mul_f16_sdwa v51, v11, v50 dst_sel:DWORD dst_unused:UNUSED_PAD src0_sel:WORD_1 src1_sel:DWORD
	v_fma_f16 v51, v11, v8, v51
	v_mul_f16_sdwa v8, v11, v8 dst_sel:DWORD dst_unused:UNUSED_PAD src0_sel:WORD_1 src1_sel:DWORD
	v_fma_f16 v8, v11, v50, -v8
	v_lshrrev_b32_e32 v11, 16, v30
	v_mul_f16_sdwa v50, v12, v11 dst_sel:DWORD dst_unused:UNUSED_PAD src0_sel:WORD_1 src1_sel:DWORD
	v_fma_f16 v50, v12, v30, v50
	v_mul_f16_sdwa v30, v12, v30 dst_sel:DWORD dst_unused:UNUSED_PAD src0_sel:WORD_1 src1_sel:DWORD
	v_fma_f16 v30, v12, v11, -v30
	v_lshrrev_b32_e32 v11, 16, v31
	;; [unrolled: 5-line block ×3, first 2 shown]
	v_mul_f16_sdwa v12, v14, v11 dst_sel:DWORD dst_unused:UNUSED_PAD src0_sel:WORD_1 src1_sel:DWORD
	v_fma_f16 v53, v14, v15, v12
	v_mul_f16_sdwa v12, v14, v15 dst_sel:DWORD dst_unused:UNUSED_PAD src0_sel:WORD_1 src1_sel:DWORD
	v_fma_f16 v15, v14, v11, -v12
	global_load_dwordx4 v[11:14], v49, s[12:13] offset:496
	s_waitcnt vmcnt(0)
	v_mul_f16_sdwa v54, v33, v11 dst_sel:DWORD dst_unused:UNUSED_PAD src0_sel:DWORD src1_sel:WORD_1
	v_fma_f16 v54, v16, v11, v54
	v_mul_f16_sdwa v16, v16, v11 dst_sel:DWORD dst_unused:UNUSED_PAD src0_sel:DWORD src1_sel:WORD_1
	v_fma_f16 v16, v33, v11, -v16
	v_mul_f16_sdwa v11, v35, v12 dst_sel:DWORD dst_unused:UNUSED_PAD src0_sel:DWORD src1_sel:WORD_1
	v_fma_f16 v33, v17, v12, v11
	v_mul_f16_sdwa v11, v17, v12 dst_sel:DWORD dst_unused:UNUSED_PAD src0_sel:DWORD src1_sel:WORD_1
	v_fma_f16 v17, v35, v12, -v11
	;; [unrolled: 4-line block ×4, first 2 shown]
	global_load_dwordx4 v[11:14], v49, s[12:13] offset:512
	v_sub_f16_e32 v36, v4, v36
	s_waitcnt vmcnt(0)
	v_mul_f16_sdwa v38, v39, v11 dst_sel:DWORD dst_unused:UNUSED_PAD src0_sel:DWORD src1_sel:WORD_1
	v_fma_f16 v38, v20, v11, v38
	v_mul_f16_sdwa v20, v20, v11 dst_sel:DWORD dst_unused:UNUSED_PAD src0_sel:DWORD src1_sel:WORD_1
	v_fma_f16 v20, v39, v11, -v20
	v_mul_f16_sdwa v11, v41, v12 dst_sel:DWORD dst_unused:UNUSED_PAD src0_sel:DWORD src1_sel:WORD_1
	v_fma_f16 v39, v21, v12, v11
	v_mul_f16_sdwa v11, v21, v12 dst_sel:DWORD dst_unused:UNUSED_PAD src0_sel:DWORD src1_sel:WORD_1
	v_fma_f16 v21, v41, v12, -v11
	;; [unrolled: 4-line block ×4, first 2 shown]
	global_load_dwordx3 v[11:13], v49, s[12:13] offset:528
	v_sub_f16_e32 v42, v53, v42
	v_sub_f16_e32 v14, v15, v14
	;; [unrolled: 1-line block ×4, first 2 shown]
	v_fma_f16 v44, v53, 2.0, -v42
	v_fma_f16 v15, v15, 2.0, -v14
	v_add_f16_e32 v14, v36, v14
	v_fma_f16 v30, v30, 2.0, -v21
	v_sub_f16_e32 v38, v51, v38
	v_sub_f16_e32 v20, v8, v20
	;; [unrolled: 1-line block ×4, first 2 shown]
	v_fma_f16 v8, v8, 2.0, -v20
	v_fma_f16 v49, v52, 2.0, -v41
	;; [unrolled: 1-line block ×3, first 2 shown]
	s_waitcnt vmcnt(0)
	s_barrier
	v_mul_f16_sdwa v26, v45, v11 dst_sel:DWORD dst_unused:UNUSED_PAD src0_sel:DWORD src1_sel:WORD_1
	v_fma_f16 v26, v27, v11, v26
	v_mul_f16_sdwa v27, v27, v11 dst_sel:DWORD dst_unused:UNUSED_PAD src0_sel:DWORD src1_sel:WORD_1
	v_fma_f16 v11, v45, v11, -v27
	v_mul_f16_sdwa v27, v47, v12 dst_sel:DWORD dst_unused:UNUSED_PAD src0_sel:DWORD src1_sel:WORD_1
	v_fma_f16 v27, v28, v12, v27
	v_mul_f16_sdwa v28, v28, v12 dst_sel:DWORD dst_unused:UNUSED_PAD src0_sel:DWORD src1_sel:WORD_1
	v_fma_f16 v12, v47, v12, -v28
	;; [unrolled: 4-line block ×3, first 2 shown]
	v_lshrrev_b32_e32 v29, 16, v4
	v_sub_f16_e32 v19, v29, v19
	v_sub_f16_e32 v27, v33, v27
	;; [unrolled: 1-line block ×3, first 2 shown]
	v_fma_f16 v33, v33, 2.0, -v27
	v_fma_f16 v17, v17, 2.0, -v12
	v_sub_f16_e32 v42, v19, v42
	v_add_f16_e32 v12, v39, v12
	v_sub_f16_e32 v27, v21, v27
	v_fma_f16 v4, v4, 2.0, -v36
	v_fma_f16 v29, v29, 2.0, -v19
	v_fma_f16 v45, v50, 2.0, -v39
	v_sub_f16_e32 v26, v54, v26
	v_sub_f16_e32 v11, v16, v11
	;; [unrolled: 1-line block ×4, first 2 shown]
	v_fma_f16 v36, v36, 2.0, -v14
	v_fma_f16 v19, v19, 2.0, -v42
	;; [unrolled: 1-line block ×9, first 2 shown]
	v_add_f16_e32 v11, v38, v11
	v_sub_f16_e32 v26, v20, v26
	v_add_f16_e32 v13, v41, v13
	v_sub_f16_e32 v28, v22, v28
	v_fma_f16 v50, v39, s0, v36
	v_fma_f16 v51, v21, s0, v19
	v_fma_f16 v38, v38, 2.0, -v11
	v_fma_f16 v20, v20, 2.0, -v26
	;; [unrolled: 1-line block ×4, first 2 shown]
	v_fma_f16 v21, v21, s1, v50
	v_fma_f16 v39, v39, s0, v51
	v_fma_f16 v50, v12, s1, v14
	v_fma_f16 v51, v27, s1, v42
	v_fma_f16 v27, v27, s1, v50
	v_fma_f16 v12, v12, s0, v51
	v_fma_f16 v50, v41, s0, v38
	v_fma_f16 v51, v22, s0, v20
	v_sub_f16_e32 v44, v4, v44
	v_sub_f16_e32 v15, v29, v15
	;; [unrolled: 1-line block ×8, first 2 shown]
	v_fma_f16 v22, v22, s1, v50
	v_fma_f16 v41, v41, s0, v51
	v_fma_f16 v45, v45, 2.0, -v33
	v_fma_f16 v30, v30, 2.0, -v17
	;; [unrolled: 1-line block ×6, first 2 shown]
	v_add_f16_e32 v17, v44, v17
	v_sub_f16_e32 v33, v15, v33
	v_fma_f16 v38, v38, 2.0, -v22
	v_fma_f16 v20, v20, 2.0, -v41
	v_add_f16_e32 v18, v48, v18
	v_sub_f16_e32 v35, v16, v35
	v_fma_f16 v50, v13, s1, v11
	v_fma_f16 v51, v28, s1, v26
	v_fma_f16 v4, v4, 2.0, -v44
	v_fma_f16 v29, v29, 2.0, -v15
	;; [unrolled: 1-line block ×8, first 2 shown]
	v_fma_f16 v28, v28, s1, v50
	v_fma_f16 v13, v13, s0, v51
	;; [unrolled: 1-line block ×4, first 2 shown]
	v_sub_f16_e32 v45, v4, v45
	v_sub_f16_e32 v30, v29, v30
	v_fma_f16 v14, v14, 2.0, -v27
	v_fma_f16 v42, v42, 2.0, -v12
	v_sub_f16_e32 v49, v47, v49
	v_sub_f16_e32 v31, v8, v31
	v_fma_f16 v11, v11, 2.0, -v28
	v_fma_f16 v26, v26, 2.0, -v13
	v_fma_f16 v20, v20, s5, v50
	v_fma_f16 v38, v38, s6, v51
	;; [unrolled: 1-line block ×4, first 2 shown]
	v_fma_f16 v4, v4, 2.0, -v45
	v_fma_f16 v29, v29, 2.0, -v30
	;; [unrolled: 1-line block ×4, first 2 shown]
	v_fma_f16 v16, v16, s1, v50
	v_fma_f16 v48, v48, s0, v51
	;; [unrolled: 1-line block ×4, first 2 shown]
	v_sub_f16_e32 v47, v4, v47
	v_sub_f16_e32 v8, v29, v8
	v_fma_f16 v26, v26, s7, v50
	v_fma_f16 v11, v11, s4, v51
	;; [unrolled: 1-line block ×4, first 2 shown]
	v_fma_f16 v4, v4, 2.0, -v47
	v_fma_f16 v29, v29, 2.0, -v8
	;; [unrolled: 1-line block ×4, first 2 shown]
	v_fma_f16 v41, v41, s7, v50
	v_fma_f16 v22, v22, s4, v51
	;; [unrolled: 1-line block ×4, first 2 shown]
	v_fma_f16 v44, v44, 2.0, -v16
	v_fma_f16 v15, v15, 2.0, -v48
	;; [unrolled: 1-line block ×4, first 2 shown]
	v_add_f16_e32 v31, v45, v31
	v_sub_f16_e32 v49, v30, v49
	v_fma_f16 v35, v35, s1, v50
	v_fma_f16 v18, v18, s0, v51
	;; [unrolled: 1-line block ×4, first 2 shown]
	v_pack_b32_f16 v4, v4, v29
	v_pack_b32_f16 v19, v36, v19
	v_fma_f16 v45, v45, 2.0, -v31
	v_fma_f16 v30, v30, 2.0, -v49
	;; [unrolled: 1-line block ×4, first 2 shown]
	v_fma_f16 v13, v13, s5, v50
	v_fma_f16 v28, v28, s6, v51
	ds_write2_b32 v0, v4, v19 offset1:125
	v_pack_b32_f16 v4, v44, v15
	v_pack_b32_f16 v14, v14, v42
	v_add_u32_e32 v15, 0x200, v0
	v_fma_f16 v17, v17, 2.0, -v35
	v_fma_f16 v33, v33, 2.0, -v18
	;; [unrolled: 1-line block ×4, first 2 shown]
	ds_write2_b32 v15, v4, v14 offset0:122 offset1:247
	v_pack_b32_f16 v4, v45, v30
	v_pack_b32_f16 v14, v21, v39
	ds_write2_b32 v32, v4, v14 offset0:116 offset1:241
	v_pack_b32_f16 v4, v17, v33
	v_pack_b32_f16 v12, v27, v12
	;; [unrolled: 3-line block ×6, first 2 shown]
	ds_write2_b32 v46, v4, v8 offset0:86 offset1:211
	s_waitcnt lgkmcnt(0)
	s_barrier
	ds_read_b32 v8, v0
	s_add_u32 s6, s12, 0x1f2c
	v_lshlrev_b32_e32 v4, 2, v3
	s_addc_u32 s7, s13, 0
	v_sub_u32_e32 v14, 0, v4
	v_cmp_ne_u32_e64 s[0:1], 0, v3
                                        ; implicit-def: $vgpr17
                                        ; implicit-def: $vgpr15
                                        ; implicit-def: $vgpr16
                                        ; implicit-def: $vgpr12_vgpr13
	s_and_saveexec_b64 s[4:5], s[0:1]
	s_xor_b64 s[4:5], exec, s[4:5]
	s_cbranch_execz .LBB0_25
; %bb.24:
	v_mov_b32_e32 v4, 0
	v_lshlrev_b64 v[11:12], 2, v[3:4]
	v_mov_b32_e32 v13, s7
	v_add_co_u32_e64 v11, s[0:1], s6, v11
	v_addc_co_u32_e64 v12, s[0:1], v13, v12, s[0:1]
	global_load_dword v11, v[11:12], off
	ds_read_b32 v12, v14 offset:8000
	s_mov_b32 s0, 0xffff
	s_waitcnt lgkmcnt(0)
	v_pk_add_f16 v13, v8, v12 neg_lo:[0,1] neg_hi:[0,1]
	v_pk_add_f16 v8, v12, v8
	v_bfi_b32 v12, s0, v13, v8
	v_bfi_b32 v8, s0, v8, v13
	v_pk_mul_f16 v12, v12, 0.5 op_sel_hi:[1,0]
	v_pk_mul_f16 v13, v8, 0.5 op_sel_hi:[1,0]
	s_waitcnt vmcnt(0)
	v_pk_mul_f16 v15, v11, v12 op_sel:[1,0]
	v_pk_mul_f16 v11, v11, v12 op_sel_hi:[0,1]
	v_pk_fma_f16 v8, v8, 0.5, v15 op_sel_hi:[1,0,1]
	v_sub_f16_e32 v12, v13, v15
	v_sub_f16_sdwa v13, v15, v13 dst_sel:DWORD dst_unused:UNUSED_PAD src0_sel:WORD_1 src1_sel:WORD_1
	v_pk_add_f16 v17, v8, v11 op_sel:[0,1] op_sel_hi:[1,0]
	v_pk_add_f16 v8, v8, v11 op_sel:[0,1] op_sel_hi:[1,0] neg_lo:[0,1] neg_hi:[0,1]
	v_sub_f16_sdwa v15, v12, v11 dst_sel:DWORD dst_unused:UNUSED_PAD src0_sel:DWORD src1_sel:WORD_1
	v_sub_f16_e32 v16, v13, v11
	v_mov_b32_e32 v13, v4
	v_bfi_b32 v17, s0, v17, v8
	v_mov_b32_e32 v12, v3
                                        ; implicit-def: $vgpr8
.LBB0_25:
	s_andn2_saveexec_b64 s[0:1], s[4:5]
	s_cbranch_execz .LBB0_27
; %bb.26:
	v_mov_b32_e32 v16, 0
	ds_read_u16 v4, v16 offset:4002
	s_waitcnt lgkmcnt(1)
	v_alignbit_b32 v11, s0, v8, 16
	v_sub_f16_sdwa v15, v8, v8 dst_sel:DWORD dst_unused:UNUSED_PAD src0_sel:DWORD src1_sel:WORD_1
	v_mov_b32_e32 v12, 0
	v_pk_add_f16 v8, v11, v8
	v_mov_b32_e32 v13, 0
	s_waitcnt lgkmcnt(0)
	v_xor_b32_e32 v4, 0x8000, v4
	v_pack_b32_f16 v17, v8, 0
	ds_write_b16 v16, v4 offset:4002
.LBB0_27:
	s_or_b64 exec, exec, s[0:1]
	s_waitcnt lgkmcnt(0)
	v_mov_b32_e32 v8, 0
	v_lshlrev_b64 v[18:19], 2, v[7:8]
	v_mov_b32_e32 v4, s7
	v_add_co_u32_e64 v18, s[0:1], s6, v18
	v_addc_co_u32_e64 v19, s[0:1], v4, v19, s[0:1]
	global_load_dword v4, v[18:19], off
	v_mov_b32_e32 v11, v8
	v_lshlrev_b64 v[10:11], 2, v[10:11]
	v_mov_b32_e32 v7, s7
	v_add_co_u32_e64 v10, s[0:1], s6, v10
	v_addc_co_u32_e64 v11, s[0:1], v7, v11, s[0:1]
	global_load_dword v7, v[10:11], off
	;; [unrolled: 6-line block ×3, first 2 shown]
	v_lshlrev_b64 v[9:10], 2, v[12:13]
	v_mov_b32_e32 v12, s7
	v_add_co_u32_e64 v9, s[0:1], s6, v9
	ds_write_b16 v14, v16 offset:8002
	ds_write_b32 v0, v17
	ds_write_b16 v14, v15 offset:8000
	v_addc_co_u32_e64 v10, s[0:1], v12, v10, s[0:1]
	ds_read_b32 v13, v25
	ds_read_b32 v15, v14 offset:7500
	global_load_dword v12, v[9:10], off offset:2000
	global_load_dword v16, v[9:10], off offset:2500
	;; [unrolled: 1-line block ×4, first 2 shown]
	s_mov_b32 s4, 0xffff
	s_waitcnt lgkmcnt(0)
	v_pk_add_f16 v9, v13, v15 neg_lo:[0,1] neg_hi:[0,1]
	v_pk_add_f16 v10, v13, v15
	v_bfi_b32 v13, s4, v9, v10
	v_bfi_b32 v9, s4, v10, v9
	v_pk_mul_f16 v10, v13, 0.5 op_sel_hi:[1,0]
	v_pk_mul_f16 v9, v9, 0.5 op_sel_hi:[1,0]
	s_waitcnt vmcnt(6)
	v_pk_fma_f16 v13, v4, v10, v9 op_sel:[1,0,0]
	v_pk_mul_f16 v15, v4, v10 op_sel_hi:[0,1]
	v_pk_fma_f16 v19, v4, v10, v9 op_sel:[1,0,0] neg_lo:[1,0,0] neg_hi:[1,0,0]
	v_pk_fma_f16 v4, v4, v10, v9 op_sel:[1,0,0] neg_lo:[0,0,1] neg_hi:[0,0,1]
	v_pk_add_f16 v9, v13, v15 op_sel:[0,1] op_sel_hi:[1,0]
	v_pk_add_f16 v10, v13, v15 op_sel:[0,1] op_sel_hi:[1,0] neg_lo:[0,1] neg_hi:[0,1]
	v_pk_add_f16 v13, v19, v15 op_sel:[0,1] op_sel_hi:[1,0] neg_lo:[0,1] neg_hi:[0,1]
	;; [unrolled: 1-line block ×3, first 2 shown]
	v_bfi_b32 v9, s4, v9, v10
	v_bfi_b32 v4, s4, v13, v4
	ds_write_b32 v25, v9
	ds_write_b32 v14, v4 offset:7500
	ds_read_b32 v4, v24
	ds_read_b32 v9, v14 offset:7000
	s_waitcnt lgkmcnt(0)
	v_pk_add_f16 v10, v4, v9 neg_lo:[0,1] neg_hi:[0,1]
	v_pk_add_f16 v4, v4, v9
	v_bfi_b32 v9, s4, v10, v4
	v_bfi_b32 v4, s4, v4, v10
	v_pk_mul_f16 v9, v9, 0.5 op_sel_hi:[1,0]
	v_pk_mul_f16 v4, v4, 0.5 op_sel_hi:[1,0]
	s_waitcnt vmcnt(5)
	v_pk_fma_f16 v10, v7, v9, v4 op_sel:[1,0,0]
	v_pk_mul_f16 v13, v7, v9 op_sel_hi:[0,1]
	v_pk_fma_f16 v15, v7, v9, v4 op_sel:[1,0,0] neg_lo:[1,0,0] neg_hi:[1,0,0]
	v_pk_fma_f16 v4, v7, v9, v4 op_sel:[1,0,0] neg_lo:[0,0,1] neg_hi:[0,0,1]
	v_pk_add_f16 v7, v10, v13 op_sel:[0,1] op_sel_hi:[1,0]
	v_pk_add_f16 v9, v10, v13 op_sel:[0,1] op_sel_hi:[1,0] neg_lo:[0,1] neg_hi:[0,1]
	v_pk_add_f16 v10, v15, v13 op_sel:[0,1] op_sel_hi:[1,0] neg_lo:[0,1] neg_hi:[0,1]
	;; [unrolled: 1-line block ×3, first 2 shown]
	v_bfi_b32 v7, s4, v7, v9
	v_bfi_b32 v4, s4, v10, v4
	ds_write_b32 v24, v7
	ds_write_b32 v14, v4 offset:7000
	ds_read_b32 v4, v23
	ds_read_b32 v7, v14 offset:6500
	s_waitcnt lgkmcnt(0)
	v_pk_add_f16 v9, v4, v7 neg_lo:[0,1] neg_hi:[0,1]
	v_pk_add_f16 v4, v4, v7
	v_bfi_b32 v7, s4, v9, v4
	v_bfi_b32 v4, s4, v4, v9
	v_pk_mul_f16 v7, v7, 0.5 op_sel_hi:[1,0]
	v_pk_mul_f16 v4, v4, 0.5 op_sel_hi:[1,0]
	s_waitcnt vmcnt(4)
	v_pk_fma_f16 v9, v11, v7, v4 op_sel:[1,0,0]
	v_pk_mul_f16 v10, v11, v7 op_sel_hi:[0,1]
	v_pk_fma_f16 v13, v11, v7, v4 op_sel:[1,0,0] neg_lo:[1,0,0] neg_hi:[1,0,0]
	v_pk_fma_f16 v4, v11, v7, v4 op_sel:[1,0,0] neg_lo:[0,0,1] neg_hi:[0,0,1]
	v_pk_add_f16 v7, v9, v10 op_sel:[0,1] op_sel_hi:[1,0]
	v_pk_add_f16 v9, v9, v10 op_sel:[0,1] op_sel_hi:[1,0] neg_lo:[0,1] neg_hi:[0,1]
	v_pk_add_f16 v11, v13, v10 op_sel:[0,1] op_sel_hi:[1,0] neg_lo:[0,1] neg_hi:[0,1]
	;; [unrolled: 1-line block ×3, first 2 shown]
	v_bfi_b32 v7, s4, v7, v9
	v_bfi_b32 v4, s4, v11, v4
	ds_write_b32 v23, v7
	ds_write_b32 v14, v4 offset:6500
	ds_read_b32 v4, v0 offset:2000
	ds_read_b32 v7, v14 offset:6000
	s_waitcnt lgkmcnt(0)
	v_pk_add_f16 v9, v4, v7 neg_lo:[0,1] neg_hi:[0,1]
	v_pk_add_f16 v4, v4, v7
	v_bfi_b32 v7, s4, v9, v4
	v_bfi_b32 v4, s4, v4, v9
	v_pk_mul_f16 v7, v7, 0.5 op_sel_hi:[1,0]
	v_pk_mul_f16 v9, v4, 0.5 op_sel_hi:[1,0]
	s_waitcnt vmcnt(3)
	v_pk_mul_f16 v10, v12, v7 op_sel:[1,0]
	v_pk_mul_f16 v7, v12, v7 op_sel_hi:[0,1]
	v_pk_fma_f16 v4, v4, 0.5, v10 op_sel_hi:[1,0,1]
	v_sub_f16_e32 v11, v9, v10
	v_sub_f16_sdwa v9, v10, v9 dst_sel:DWORD dst_unused:UNUSED_PAD src0_sel:WORD_1 src1_sel:WORD_1
	v_pk_add_f16 v10, v4, v7 op_sel:[0,1] op_sel_hi:[1,0]
	v_pk_add_f16 v4, v4, v7 op_sel:[0,1] op_sel_hi:[1,0] neg_lo:[0,1] neg_hi:[0,1]
	v_sub_f16_sdwa v11, v11, v7 dst_sel:DWORD dst_unused:UNUSED_PAD src0_sel:DWORD src1_sel:WORD_1
	v_sub_f16_e32 v7, v9, v7
	v_bfi_b32 v4, s4, v10, v4
	ds_write_b16 v14, v7 offset:6002
	ds_write_b32 v0, v4 offset:2000
	ds_write_b16 v14, v11 offset:6000
	ds_read_b32 v4, v0 offset:2500
	ds_read_b32 v7, v14 offset:5500
	s_waitcnt lgkmcnt(0)
	v_pk_add_f16 v9, v4, v7 neg_lo:[0,1] neg_hi:[0,1]
	v_pk_add_f16 v4, v4, v7
	v_bfi_b32 v7, s4, v9, v4
	v_bfi_b32 v4, s4, v4, v9
	v_pk_mul_f16 v7, v7, 0.5 op_sel_hi:[1,0]
	v_pk_mul_f16 v9, v4, 0.5 op_sel_hi:[1,0]
	s_waitcnt vmcnt(2)
	v_pk_mul_f16 v10, v16, v7 op_sel:[1,0]
	v_pk_mul_f16 v7, v16, v7 op_sel_hi:[0,1]
	v_pk_fma_f16 v4, v4, 0.5, v10 op_sel_hi:[1,0,1]
	v_sub_f16_e32 v11, v9, v10
	v_sub_f16_sdwa v9, v10, v9 dst_sel:DWORD dst_unused:UNUSED_PAD src0_sel:WORD_1 src1_sel:WORD_1
	v_pk_add_f16 v10, v4, v7 op_sel:[0,1] op_sel_hi:[1,0]
	v_pk_add_f16 v4, v4, v7 op_sel:[0,1] op_sel_hi:[1,0] neg_lo:[0,1] neg_hi:[0,1]
	v_sub_f16_sdwa v11, v11, v7 dst_sel:DWORD dst_unused:UNUSED_PAD src0_sel:DWORD src1_sel:WORD_1
	v_sub_f16_e32 v7, v9, v7
	v_bfi_b32 v4, s4, v10, v4
	ds_write_b16 v14, v7 offset:5502
	ds_write_b32 v0, v4 offset:2500
	ds_write_b16 v14, v11 offset:5500
	ds_read_b32 v4, v0 offset:3000
	ds_read_b32 v7, v14 offset:5000
	s_waitcnt lgkmcnt(0)
	v_pk_add_f16 v9, v4, v7 neg_lo:[0,1] neg_hi:[0,1]
	v_pk_add_f16 v4, v4, v7
	v_bfi_b32 v7, s4, v9, v4
	v_pk_mul_f16 v7, v7, 0.5 op_sel_hi:[1,0]
	v_bfi_b32 v4, s4, v4, v9
	s_waitcnt vmcnt(1)
	v_pk_mul_f16 v10, v17, v7 op_sel:[1,0]
	v_pk_mul_f16 v9, v4, 0.5 op_sel_hi:[1,0]
	v_pk_fma_f16 v4, v4, 0.5, v10 op_sel_hi:[1,0,1]
	v_pk_mul_f16 v7, v17, v7 op_sel_hi:[0,1]
	v_pk_add_f16 v11, v4, v7 op_sel:[0,1] op_sel_hi:[1,0]
	v_pk_add_f16 v4, v4, v7 op_sel:[0,1] op_sel_hi:[1,0] neg_lo:[0,1] neg_hi:[0,1]
	v_bfi_b32 v4, s4, v11, v4
	v_sub_f16_e32 v11, v9, v10
	v_sub_f16_sdwa v9, v10, v9 dst_sel:DWORD dst_unused:UNUSED_PAD src0_sel:WORD_1 src1_sel:WORD_1
	v_sub_f16_sdwa v11, v11, v7 dst_sel:DWORD dst_unused:UNUSED_PAD src0_sel:DWORD src1_sel:WORD_1
	v_sub_f16_e32 v7, v9, v7
	ds_write_b16 v14, v7 offset:5002
	ds_write_b32 v0, v4 offset:3000
	ds_write_b16 v14, v11 offset:5000
	ds_read_b32 v4, v0 offset:3500
	ds_read_b32 v7, v14 offset:4500
	s_waitcnt lgkmcnt(0)
	v_pk_add_f16 v9, v4, v7 neg_lo:[0,1] neg_hi:[0,1]
	v_pk_add_f16 v4, v4, v7
	v_bfi_b32 v7, s4, v9, v4
	v_bfi_b32 v4, s4, v4, v9
	v_pk_mul_f16 v7, v7, 0.5 op_sel_hi:[1,0]
	v_pk_mul_f16 v4, v4, 0.5 op_sel_hi:[1,0]
	s_waitcnt vmcnt(0)
	v_pk_fma_f16 v9, v18, v7, v4 op_sel:[1,0,0]
	v_pk_mul_f16 v10, v18, v7 op_sel_hi:[0,1]
	v_pk_add_f16 v11, v9, v10 op_sel:[0,1] op_sel_hi:[1,0]
	v_pk_add_f16 v9, v9, v10 op_sel:[0,1] op_sel_hi:[1,0] neg_lo:[0,1] neg_hi:[0,1]
	v_bfi_b32 v9, s4, v11, v9
	v_pk_fma_f16 v11, v18, v7, v4 op_sel:[1,0,0] neg_lo:[1,0,0] neg_hi:[1,0,0]
	v_pk_fma_f16 v4, v18, v7, v4 op_sel:[1,0,0] neg_lo:[0,0,1] neg_hi:[0,0,1]
	v_pk_add_f16 v11, v11, v10 op_sel:[0,1] op_sel_hi:[1,0] neg_lo:[0,1] neg_hi:[0,1]
	v_pk_add_f16 v4, v4, v10 op_sel:[0,1] op_sel_hi:[1,0] neg_lo:[0,1] neg_hi:[0,1]
	ds_write_b32 v0, v9 offset:3500
	v_bfi_b32 v0, s4, v11, v4
	ds_write_b32 v14, v0 offset:4500
	s_waitcnt lgkmcnt(0)
	s_barrier
	s_and_saveexec_b64 s[0:1], vcc
	s_cbranch_execz .LBB0_30
; %bb.28:
	v_mul_lo_u32 v0, s3, v5
	v_mul_lo_u32 v4, s2, v6
	v_mad_u64_u32 v[5:6], s[0:1], s2, v5, 0
	v_lshl_add_u32 v11, v3, 2, 0
	v_lshlrev_b64 v[1:2], 2, v[1:2]
	v_add3_u32 v6, v6, v4, v0
	v_lshlrev_b64 v[5:6], 2, v[5:6]
	v_mov_b32_e32 v0, s11
	v_add_co_u32_e32 v5, vcc, s10, v5
	v_mov_b32_e32 v4, v8
	ds_read2_b32 v[9:10], v11 offset1:125
	v_addc_co_u32_e32 v0, vcc, v0, v6, vcc
	v_add_co_u32_e32 v1, vcc, v5, v1
	v_lshlrev_b64 v[4:5], 2, v[3:4]
	v_addc_co_u32_e32 v0, vcc, v0, v2, vcc
	v_add_co_u32_e32 v4, vcc, v1, v4
	v_addc_co_u32_e32 v5, vcc, v0, v5, vcc
	v_add_u32_e32 v7, 0x7d, v3
	s_waitcnt lgkmcnt(0)
	global_store_dword v[4:5], v9, off
	v_lshlrev_b64 v[4:5], 2, v[7:8]
	v_add_u32_e32 v2, 0x200, v11
	v_add_co_u32_e32 v4, vcc, v1, v4
	v_addc_co_u32_e32 v5, vcc, v0, v5, vcc
	global_store_dword v[4:5], v10, off
	v_add_u32_e32 v7, 0xfa, v3
	ds_read2_b32 v[4:5], v2 offset0:122 offset1:247
	v_lshlrev_b64 v[6:7], 2, v[7:8]
	v_add_u32_e32 v2, 0x600, v11
	v_add_co_u32_e32 v6, vcc, v1, v6
	v_addc_co_u32_e32 v7, vcc, v0, v7, vcc
	s_waitcnt lgkmcnt(0)
	global_store_dword v[6:7], v4, off
	v_add_u32_e32 v7, 0x177, v3
	v_lshlrev_b64 v[6:7], 2, v[7:8]
	s_movk_i32 s0, 0x7c
	v_add_co_u32_e32 v6, vcc, v1, v6
	v_addc_co_u32_e32 v7, vcc, v0, v7, vcc
	global_store_dword v[6:7], v5, off
	v_add_u32_e32 v7, 0x1f4, v3
	ds_read2_b32 v[4:5], v2 offset0:116 offset1:241
	v_lshlrev_b64 v[6:7], 2, v[7:8]
	v_add_u32_e32 v2, 0xa00, v11
	v_add_co_u32_e32 v6, vcc, v1, v6
	v_addc_co_u32_e32 v7, vcc, v0, v7, vcc
	s_waitcnt lgkmcnt(0)
	global_store_dword v[6:7], v4, off
	v_add_u32_e32 v7, 0x271, v3
	v_lshlrev_b64 v[6:7], 2, v[7:8]
	v_add_co_u32_e32 v6, vcc, v1, v6
	v_addc_co_u32_e32 v7, vcc, v0, v7, vcc
	global_store_dword v[6:7], v5, off
	v_add_u32_e32 v7, 0x2ee, v3
	ds_read2_b32 v[4:5], v2 offset0:110 offset1:235
	v_lshlrev_b64 v[6:7], 2, v[7:8]
	v_add_u32_e32 v2, 0xe00, v11
	v_add_co_u32_e32 v6, vcc, v1, v6
	v_addc_co_u32_e32 v7, vcc, v0, v7, vcc
	s_waitcnt lgkmcnt(0)
	global_store_dword v[6:7], v4, off
	v_add_u32_e32 v7, 0x36b, v3
	v_lshlrev_b64 v[6:7], 2, v[7:8]
	;; [unrolled: 13-line block ×5, first 2 shown]
	v_add_co_u32_e32 v6, vcc, v1, v6
	v_addc_co_u32_e32 v7, vcc, v0, v7, vcc
	global_store_dword v[6:7], v5, off
	v_add_u32_e32 v7, 0x6d6, v3
	ds_read2_b32 v[4:5], v2 offset0:86 offset1:211
	v_lshlrev_b64 v[6:7], 2, v[7:8]
	v_add_co_u32_e32 v6, vcc, v1, v6
	v_addc_co_u32_e32 v7, vcc, v0, v7, vcc
	s_waitcnt lgkmcnt(0)
	global_store_dword v[6:7], v4, off
	v_add_u32_e32 v7, 0x753, v3
	v_lshlrev_b64 v[6:7], 2, v[7:8]
	v_add_co_u32_e32 v6, vcc, v1, v6
	v_addc_co_u32_e32 v7, vcc, v0, v7, vcc
	v_cmp_eq_u32_e32 vcc, s0, v3
	global_store_dword v[6:7], v5, off
	s_and_b64 exec, exec, vcc
	s_cbranch_execz .LBB0_30
; %bb.29:
	v_mov_b32_e32 v2, 0
	ds_read_b32 v3, v2 offset:8000
	v_add_co_u32_e32 v1, vcc, 0x1000, v1
	v_addc_co_u32_e32 v2, vcc, 0, v0, vcc
	s_waitcnt lgkmcnt(0)
	global_store_dword v[1:2], v3, off offset:3904
.LBB0_30:
	s_endpgm
	.section	.rodata,"a",@progbits
	.p2align	6, 0x0
	.amdhsa_kernel fft_rtc_back_len2000_factors_5_5_5_16_wgs_125_tpt_125_halfLds_half_op_CI_CI_unitstride_sbrr_R2C_dirReg
		.amdhsa_group_segment_fixed_size 0
		.amdhsa_private_segment_fixed_size 0
		.amdhsa_kernarg_size 104
		.amdhsa_user_sgpr_count 6
		.amdhsa_user_sgpr_private_segment_buffer 1
		.amdhsa_user_sgpr_dispatch_ptr 0
		.amdhsa_user_sgpr_queue_ptr 0
		.amdhsa_user_sgpr_kernarg_segment_ptr 1
		.amdhsa_user_sgpr_dispatch_id 0
		.amdhsa_user_sgpr_flat_scratch_init 0
		.amdhsa_user_sgpr_private_segment_size 0
		.amdhsa_uses_dynamic_stack 0
		.amdhsa_system_sgpr_private_segment_wavefront_offset 0
		.amdhsa_system_sgpr_workgroup_id_x 1
		.amdhsa_system_sgpr_workgroup_id_y 0
		.amdhsa_system_sgpr_workgroup_id_z 0
		.amdhsa_system_sgpr_workgroup_info 0
		.amdhsa_system_vgpr_workitem_id 0
		.amdhsa_next_free_vgpr 70
		.amdhsa_next_free_sgpr 28
		.amdhsa_reserve_vcc 1
		.amdhsa_reserve_flat_scratch 0
		.amdhsa_float_round_mode_32 0
		.amdhsa_float_round_mode_16_64 0
		.amdhsa_float_denorm_mode_32 3
		.amdhsa_float_denorm_mode_16_64 3
		.amdhsa_dx10_clamp 1
		.amdhsa_ieee_mode 1
		.amdhsa_fp16_overflow 0
		.amdhsa_exception_fp_ieee_invalid_op 0
		.amdhsa_exception_fp_denorm_src 0
		.amdhsa_exception_fp_ieee_div_zero 0
		.amdhsa_exception_fp_ieee_overflow 0
		.amdhsa_exception_fp_ieee_underflow 0
		.amdhsa_exception_fp_ieee_inexact 0
		.amdhsa_exception_int_div_zero 0
	.end_amdhsa_kernel
	.text
.Lfunc_end0:
	.size	fft_rtc_back_len2000_factors_5_5_5_16_wgs_125_tpt_125_halfLds_half_op_CI_CI_unitstride_sbrr_R2C_dirReg, .Lfunc_end0-fft_rtc_back_len2000_factors_5_5_5_16_wgs_125_tpt_125_halfLds_half_op_CI_CI_unitstride_sbrr_R2C_dirReg
                                        ; -- End function
	.section	.AMDGPU.csdata,"",@progbits
; Kernel info:
; codeLenInByte = 13252
; NumSgprs: 32
; NumVgprs: 70
; ScratchSize: 0
; MemoryBound: 0
; FloatMode: 240
; IeeeMode: 1
; LDSByteSize: 0 bytes/workgroup (compile time only)
; SGPRBlocks: 3
; VGPRBlocks: 17
; NumSGPRsForWavesPerEU: 32
; NumVGPRsForWavesPerEU: 70
; Occupancy: 3
; WaveLimiterHint : 1
; COMPUTE_PGM_RSRC2:SCRATCH_EN: 0
; COMPUTE_PGM_RSRC2:USER_SGPR: 6
; COMPUTE_PGM_RSRC2:TRAP_HANDLER: 0
; COMPUTE_PGM_RSRC2:TGID_X_EN: 1
; COMPUTE_PGM_RSRC2:TGID_Y_EN: 0
; COMPUTE_PGM_RSRC2:TGID_Z_EN: 0
; COMPUTE_PGM_RSRC2:TIDIG_COMP_CNT: 0
	.type	__hip_cuid_9438b18c40ce634b,@object ; @__hip_cuid_9438b18c40ce634b
	.section	.bss,"aw",@nobits
	.globl	__hip_cuid_9438b18c40ce634b
__hip_cuid_9438b18c40ce634b:
	.byte	0                               ; 0x0
	.size	__hip_cuid_9438b18c40ce634b, 1

	.ident	"AMD clang version 19.0.0git (https://github.com/RadeonOpenCompute/llvm-project roc-6.4.0 25133 c7fe45cf4b819c5991fe208aaa96edf142730f1d)"
	.section	".note.GNU-stack","",@progbits
	.addrsig
	.addrsig_sym __hip_cuid_9438b18c40ce634b
	.amdgpu_metadata
---
amdhsa.kernels:
  - .args:
      - .actual_access:  read_only
        .address_space:  global
        .offset:         0
        .size:           8
        .value_kind:     global_buffer
      - .offset:         8
        .size:           8
        .value_kind:     by_value
      - .actual_access:  read_only
        .address_space:  global
        .offset:         16
        .size:           8
        .value_kind:     global_buffer
      - .actual_access:  read_only
        .address_space:  global
        .offset:         24
        .size:           8
        .value_kind:     global_buffer
      - .actual_access:  read_only
        .address_space:  global
        .offset:         32
        .size:           8
        .value_kind:     global_buffer
      - .offset:         40
        .size:           8
        .value_kind:     by_value
      - .actual_access:  read_only
        .address_space:  global
        .offset:         48
        .size:           8
        .value_kind:     global_buffer
      - .actual_access:  read_only
        .address_space:  global
        .offset:         56
        .size:           8
        .value_kind:     global_buffer
      - .offset:         64
        .size:           4
        .value_kind:     by_value
      - .actual_access:  read_only
        .address_space:  global
        .offset:         72
        .size:           8
        .value_kind:     global_buffer
      - .actual_access:  read_only
        .address_space:  global
        .offset:         80
        .size:           8
        .value_kind:     global_buffer
      - .actual_access:  read_only
        .address_space:  global
        .offset:         88
        .size:           8
        .value_kind:     global_buffer
      - .actual_access:  write_only
        .address_space:  global
        .offset:         96
        .size:           8
        .value_kind:     global_buffer
    .group_segment_fixed_size: 0
    .kernarg_segment_align: 8
    .kernarg_segment_size: 104
    .language:       OpenCL C
    .language_version:
      - 2
      - 0
    .max_flat_workgroup_size: 125
    .name:           fft_rtc_back_len2000_factors_5_5_5_16_wgs_125_tpt_125_halfLds_half_op_CI_CI_unitstride_sbrr_R2C_dirReg
    .private_segment_fixed_size: 0
    .sgpr_count:     32
    .sgpr_spill_count: 0
    .symbol:         fft_rtc_back_len2000_factors_5_5_5_16_wgs_125_tpt_125_halfLds_half_op_CI_CI_unitstride_sbrr_R2C_dirReg.kd
    .uniform_work_group_size: 1
    .uses_dynamic_stack: false
    .vgpr_count:     70
    .vgpr_spill_count: 0
    .wavefront_size: 64
amdhsa.target:   amdgcn-amd-amdhsa--gfx906
amdhsa.version:
  - 1
  - 2
...

	.end_amdgpu_metadata
